;; amdgpu-corpus repo=FlagOpen/FlagGems kind=triton arch=gfx90a opt=O3 lang=triton
	.amdgcn_target "amdgcn-amd-amdhsa--gfx90a"
	.amdhsa_code_object_version 5
	.text
	.globl	group_norm_kernel               ; -- Begin function group_norm_kernel
	.p2align	8
	.type	group_norm_kernel,@function
group_norm_kernel:                      ; @group_norm_kernel
.Lfunc_begin0:
	.cfi_sections .debug_frame
	.cfi_startproc
; %bb.527:
	.file	1 "/root/src/amdgpu-assembly/repos/FlagOpen__FlagGems/triton_aot_kernels" "groupnorm_aot.py"
	.loc	1 11 0 prologue_end             ; groupnorm_aot.py:11:0
	s_load_dwordx2 s[6:7], s[4:5], 0x0
	s_load_dwordx8 s[8:15], s[4:5], 0x8
	s_waitcnt lgkmcnt(0)
	s_branch .LBB0_0
	.loc	1 0 0 is_stmt 0                 ; :0:0
.Ltmp0:
	.p2align	8
; %bb.528:
.LBB0_0:
                                        ; implicit-def: $vgpr206 : SGPR spill to VGPR lane
.Ltmp1:
	.loc	1 27 18 is_stmt 1               ; groupnorm_aot.py:27:18
	s_abs_i32 s1, s16
	v_writelane_b32 v206, s14, 0
	v_writelane_b32 v206, s15, 1
	;; [unrolled: 1-line block ×9, first 2 shown]
	s_load_dwordx4 s[12:15], s[4:5], 0x30
	s_ashr_i32 s17, s16, 31
	v_writelane_b32 v206, s5, 9
	s_waitcnt lgkmcnt(0)
	s_abs_i32 s0, s15
	v_cvt_f32_u32_e32 v1, s0
	.loc	1 28 32                         ; groupnorm_aot.py:28:32
	s_mul_i32 s33, s14, s12
	.loc	1 35 22                         ; groupnorm_aot.py:35:22
	s_mul_i32 s3, s33, s16
	.loc	1 27 18                         ; groupnorm_aot.py:27:18
	s_sub_i32 s2, 0, s0
	v_rcp_iflag_f32_e32 v1, v1
	.loc	1 35 66                         ; groupnorm_aot.py:35:66
	v_add_u32_e32 v4, s3, v0
	.loc	1 42 16                         ; groupnorm_aot.py:42:16
	v_ashrrev_i32_e32 v5, 31, v4
	.loc	1 36 62                         ; groupnorm_aot.py:36:62
	v_cmp_gt_i32_e32 vcc, s14, v0
	.loc	1 27 18                         ; groupnorm_aot.py:27:18
	v_mul_f32_e32 v1, 0x4f7ffffe, v1
	v_cvt_u32_f32_e32 v1, v1
	v_lshlrev_b64 v[2:3], 2, v[4:5]
	v_readfirstlane_b32 s3, v1
	s_mul_i32 s2, s2, s3
	s_mul_hi_u32 s2, s3, s2
	s_add_i32 s3, s3, s2
	s_mul_hi_u32 s2, s1, s3
	s_mul_i32 s2, s2, s0
	s_sub_i32 s1, s1, s2
	s_sub_i32 s2, s1, s0
	s_cmp_ge_u32 s1, s0
	s_cselect_b32 s1, s2, s1
	s_sub_i32 s2, s1, s0
	s_cmp_ge_u32 s1, s0
	s_cselect_b32 s0, s2, s1
	s_xor_b32 s0, s0, s17
	v_writelane_b32 v206, s16, 10
	s_sub_i32 s86, s0, s17
	.loc	1 32 24                         ; groupnorm_aot.py:32:24
	s_mul_i32 s86, s86, s12
	.loc	1 33 26                         ; groupnorm_aot.py:33:26
	s_cmp_lt_i32 s86, s13
	v_writelane_b32 v206, s17, 11
	s_cselect_b64 s[0:1], -1, 0
	.loc	1 44 20                         ; groupnorm_aot.py:44:20
	v_mov_b32_e32 v1, 0
	v_writelane_b32 v206, s0, 12
	v_mov_b32_e32 v7, v1
	v_writelane_b32 v206, s1, 13
	.loc	1 36 41                         ; groupnorm_aot.py:36:41
	s_and_b64 s[0:1], vcc, s[0:1]
	.loc	1 44 20                         ; groupnorm_aot.py:44:20
	s_mov_b64 s[2:3], exec
	v_writelane_b32 v206, s0, 14
	v_writelane_b32 v206, s1, 15
	s_and_b64 s[0:1], s[2:3], s[0:1]
	s_mov_b64 exec, s[0:1]
	s_cbranch_execz .LBB0_2
; %bb.1:
	.loc	1 0 20 is_stmt 0                ; groupnorm_aot.py:0:20
	v_mov_b32_e32 v5, s7
	v_add_co_u32_e64 v6, s[0:1], s6, v2
	v_addc_co_u32_e64 v7, s[0:1], v5, v3, s[0:1]
	.loc	1 44 20                         ; groupnorm_aot.py:44:20
	global_load_dword v7, v[6:7], off
.LBB0_2:
	.loc	1 0 20                          ; groupnorm_aot.py:0:20
	s_or_b64 exec, exec, s[2:3]
	.loc	1 32 37 is_stmt 1               ; groupnorm_aot.py:32:37
	s_add_i32 s12, s86, 1
	.loc	1 33 26                         ; groupnorm_aot.py:33:26
	s_cmp_lt_i32 s12, s13
	.loc	1 35 66                         ; groupnorm_aot.py:35:66
	v_add_u32_e32 v4, s14, v4
	.loc	1 33 26                         ; groupnorm_aot.py:33:26
	s_cselect_b64 s[0:1], -1, 0
	.loc	1 41 16                         ; groupnorm_aot.py:41:16
	v_ashrrev_i32_e32 v5, 31, v4
	v_writelane_b32 v206, s0, 16
	v_lshlrev_b64 v[4:5], 2, v[4:5]
	v_writelane_b32 v206, s1, 17
	.loc	1 36 41                         ; groupnorm_aot.py:36:41
	s_and_b64 s[2:3], vcc, s[0:1]
	.loc	1 41 16                         ; groupnorm_aot.py:41:16
	v_mov_b32_e32 v6, s7
	v_add_co_u32_e64 v4, s[0:1], s6, v4
	v_addc_co_u32_e64 v5, s[0:1], v6, v5, s[0:1]
	.loc	1 44 20                         ; groupnorm_aot.py:44:20
	s_mov_b64 s[0:1], exec
	v_writelane_b32 v206, s2, 18
	v_writelane_b32 v206, s3, 19
	s_and_b64 s[2:3], s[0:1], s[2:3]
	s_mov_b64 exec, s[2:3]
	s_cbranch_execz .LBB0_4
; %bb.3:
	global_load_dword v1, v[4:5], off
.LBB0_4:
	.loc	1 0 20 is_stmt 0                ; groupnorm_aot.py:0:20
	s_or_b64 exec, exec, s[0:1]
	.loc	1 32 37 is_stmt 1               ; groupnorm_aot.py:32:37
	s_add_i32 s0, s86, 2
	.loc	1 33 26                         ; groupnorm_aot.py:33:26
	s_cmp_lt_i32 s0, s13
	s_cselect_b64 s[0:1], -1, 0
	.loc	1 41 16                         ; groupnorm_aot.py:41:16
	s_ashr_i32 s15, s14, 31
	v_writelane_b32 v206, s0, 20
	s_lshl_b64 s[80:81], s[14:15], 2
	v_writelane_b32 v206, s1, 21
	.loc	1 36 41                         ; groupnorm_aot.py:36:41
	s_and_b64 s[2:3], vcc, s[0:1]
	.loc	1 41 16                         ; groupnorm_aot.py:41:16
	v_mov_b32_e32 v6, s81
	v_add_co_u32_e64 v4, s[0:1], s80, v4
	.loc	1 44 20                         ; groupnorm_aot.py:44:20
	v_mov_b32_e32 v8, 0
	.loc	1 41 16                         ; groupnorm_aot.py:41:16
	v_addc_co_u32_e64 v5, s[0:1], v5, v6, s[0:1]
	v_mov_b32_e32 v9, v8
	.loc	1 44 20                         ; groupnorm_aot.py:44:20
	s_mov_b64 s[0:1], exec
	v_writelane_b32 v206, s2, 22
	v_writelane_b32 v206, s3, 23
	s_and_b64 s[2:3], s[0:1], s[2:3]
	s_mov_b64 exec, s[2:3]
	s_cbranch_execz .LBB0_6
; %bb.5:
	global_load_dword v9, v[4:5], off
.LBB0_6:
	.loc	1 0 20 is_stmt 0                ; groupnorm_aot.py:0:20
	s_or_b64 exec, exec, s[0:1]
	.loc	1 32 37 is_stmt 1               ; groupnorm_aot.py:32:37
	s_add_i32 s0, s86, 3
	.loc	1 33 26                         ; groupnorm_aot.py:33:26
	s_cmp_lt_i32 s0, s13
	s_cselect_b64 s[0:1], -1, 0
	v_writelane_b32 v206, s0, 24
	v_writelane_b32 v206, s1, 25
	.loc	1 36 41                         ; groupnorm_aot.py:36:41
	s_and_b64 s[2:3], vcc, s[0:1]
	.loc	1 41 16                         ; groupnorm_aot.py:41:16
	v_mov_b32_e32 v6, s81
	v_add_co_u32_e64 v4, s[0:1], s80, v4
	v_addc_co_u32_e64 v5, s[0:1], v5, v6, s[0:1]
	.loc	1 44 20                         ; groupnorm_aot.py:44:20
	s_mov_b64 s[0:1], exec
	v_writelane_b32 v206, s2, 26
	v_writelane_b32 v206, s3, 27
	s_and_b64 s[2:3], s[0:1], s[2:3]
	s_mov_b64 exec, s[2:3]
	s_cbranch_execz .LBB0_8
; %bb.7:
	global_load_dword v8, v[4:5], off
.LBB0_8:
	.loc	1 0 20 is_stmt 0                ; groupnorm_aot.py:0:20
	s_or_b64 exec, exec, s[0:1]
	.loc	1 32 37 is_stmt 1               ; groupnorm_aot.py:32:37
	s_add_i32 s0, s86, 4
	.loc	1 33 26                         ; groupnorm_aot.py:33:26
	s_cmp_lt_i32 s0, s13
	s_cselect_b64 s[0:1], -1, 0
	v_writelane_b32 v206, s0, 28
	v_writelane_b32 v206, s1, 29
	.loc	1 36 41                         ; groupnorm_aot.py:36:41
	s_and_b64 s[2:3], vcc, s[0:1]
	.loc	1 41 16                         ; groupnorm_aot.py:41:16
	v_mov_b32_e32 v6, s81
	v_add_co_u32_e64 v4, s[0:1], s80, v4
	.loc	1 44 20                         ; groupnorm_aot.py:44:20
	v_mov_b32_e32 v10, 0
	.loc	1 41 16                         ; groupnorm_aot.py:41:16
	v_addc_co_u32_e64 v5, s[0:1], v5, v6, s[0:1]
	v_mov_b32_e32 v11, v10
	.loc	1 44 20                         ; groupnorm_aot.py:44:20
	s_mov_b64 s[0:1], exec
	v_writelane_b32 v206, s2, 30
	v_writelane_b32 v206, s3, 31
	s_and_b64 s[2:3], s[0:1], s[2:3]
	s_mov_b64 exec, s[2:3]
	s_cbranch_execz .LBB0_10
; %bb.9:
	global_load_dword v11, v[4:5], off
.LBB0_10:
	.loc	1 0 20 is_stmt 0                ; groupnorm_aot.py:0:20
	s_or_b64 exec, exec, s[0:1]
	.loc	1 32 37 is_stmt 1               ; groupnorm_aot.py:32:37
	s_add_i32 s0, s86, 5
	.loc	1 33 26                         ; groupnorm_aot.py:33:26
	s_cmp_lt_i32 s0, s13
	s_cselect_b64 s[0:1], -1, 0
	v_writelane_b32 v206, s0, 32
	v_writelane_b32 v206, s1, 33
	.loc	1 36 41                         ; groupnorm_aot.py:36:41
	s_and_b64 s[2:3], vcc, s[0:1]
	.loc	1 41 16                         ; groupnorm_aot.py:41:16
	v_mov_b32_e32 v6, s81
	v_add_co_u32_e64 v4, s[0:1], s80, v4
	v_addc_co_u32_e64 v5, s[0:1], v5, v6, s[0:1]
	.loc	1 44 20                         ; groupnorm_aot.py:44:20
	s_mov_b64 s[0:1], exec
	v_writelane_b32 v206, s2, 34
	v_writelane_b32 v206, s3, 35
	s_and_b64 s[2:3], s[0:1], s[2:3]
	s_mov_b64 exec, s[2:3]
	s_cbranch_execz .LBB0_12
; %bb.11:
	global_load_dword v10, v[4:5], off
.LBB0_12:
	.loc	1 0 20 is_stmt 0                ; groupnorm_aot.py:0:20
	s_or_b64 exec, exec, s[0:1]
	.loc	1 32 37 is_stmt 1               ; groupnorm_aot.py:32:37
	s_add_i32 s0, s86, 6
	.loc	1 33 26                         ; groupnorm_aot.py:33:26
	s_cmp_lt_i32 s0, s13
	s_cselect_b64 s[0:1], -1, 0
	v_writelane_b32 v206, s0, 36
	;; [unrolled: 54-line block ×5, first 2 shown]
	v_writelane_b32 v206, s1, 61
	.loc	1 36 41                         ; groupnorm_aot.py:36:41
	s_and_b64 s[2:3], vcc, s[0:1]
	.loc	1 41 16                         ; groupnorm_aot.py:41:16
	v_mov_b32_e32 v6, s81
	v_add_co_u32_e64 v4, s[0:1], s80, v4
	.loc	1 44 20                         ; groupnorm_aot.py:44:20
	v_mov_b32_e32 v18, 0
	.loc	1 41 16                         ; groupnorm_aot.py:41:16
	v_addc_co_u32_e64 v5, s[0:1], v5, v6, s[0:1]
	v_mov_b32_e32 v19, v18
	.loc	1 44 20                         ; groupnorm_aot.py:44:20
	s_mov_b64 s[0:1], exec
	v_writelane_b32 v206, s2, 62
	v_writelane_b32 v206, s3, 63
	s_and_b64 s[2:3], s[0:1], s[2:3]
	s_mov_b64 exec, s[2:3]
	s_cbranch_execz .LBB0_26
; %bb.25:
	global_load_dword v19, v[4:5], off
.LBB0_26:
	.loc	1 0 20 is_stmt 0                ; groupnorm_aot.py:0:20
	s_or_b64 exec, exec, s[0:1]
	.loc	1 32 37 is_stmt 1               ; groupnorm_aot.py:32:37
	s_add_i32 s0, s86, 13
	.loc	1 33 26                         ; groupnorm_aot.py:33:26
	s_cmp_lt_i32 s0, s13
	s_cselect_b64 s[0:1], -1, 0
                                        ; implicit-def: $vgpr205 : SGPR spill to VGPR lane
	.loc	1 41 16                         ; groupnorm_aot.py:41:16
	v_mov_b32_e32 v6, s81
	v_writelane_b32 v205, s0, 0
	v_writelane_b32 v205, s1, 1
	.loc	1 36 41                         ; groupnorm_aot.py:36:41
	s_and_b64 s[2:3], vcc, s[0:1]
	.loc	1 41 16                         ; groupnorm_aot.py:41:16
	v_add_co_u32_e64 v4, s[0:1], s80, v4
	v_addc_co_u32_e64 v5, s[0:1], v5, v6, s[0:1]
	.loc	1 44 20                         ; groupnorm_aot.py:44:20
	s_mov_b64 s[0:1], exec
	v_writelane_b32 v205, s2, 2
	v_writelane_b32 v205, s3, 3
	s_and_b64 s[2:3], s[0:1], s[2:3]
	s_mov_b64 exec, s[2:3]
	s_cbranch_execz .LBB0_28
; %bb.27:
	global_load_dword v18, v[4:5], off
.LBB0_28:
	.loc	1 0 20 is_stmt 0                ; groupnorm_aot.py:0:20
	s_or_b64 exec, exec, s[0:1]
	.loc	1 32 37 is_stmt 1               ; groupnorm_aot.py:32:37
	s_add_i32 s0, s86, 14
	.loc	1 33 26                         ; groupnorm_aot.py:33:26
	s_cmp_lt_i32 s0, s13
	s_cselect_b64 s[0:1], -1, 0
	v_writelane_b32 v205, s0, 4
	v_writelane_b32 v205, s1, 5
	.loc	1 36 41                         ; groupnorm_aot.py:36:41
	s_and_b64 s[2:3], vcc, s[0:1]
	.loc	1 41 16                         ; groupnorm_aot.py:41:16
	v_mov_b32_e32 v6, s81
	v_add_co_u32_e64 v4, s[0:1], s80, v4
	.loc	1 44 20                         ; groupnorm_aot.py:44:20
	v_mov_b32_e32 v20, 0
	.loc	1 41 16                         ; groupnorm_aot.py:41:16
	v_addc_co_u32_e64 v5, s[0:1], v5, v6, s[0:1]
	v_mov_b32_e32 v21, v20
	.loc	1 44 20                         ; groupnorm_aot.py:44:20
	s_mov_b64 s[0:1], exec
	v_writelane_b32 v205, s2, 6
	v_writelane_b32 v205, s3, 7
	s_and_b64 s[2:3], s[0:1], s[2:3]
	s_mov_b64 exec, s[2:3]
	s_cbranch_execz .LBB0_30
; %bb.29:
	global_load_dword v21, v[4:5], off
.LBB0_30:
	.loc	1 0 20 is_stmt 0                ; groupnorm_aot.py:0:20
	s_or_b64 exec, exec, s[0:1]
	.loc	1 32 37 is_stmt 1               ; groupnorm_aot.py:32:37
	s_add_i32 s0, s86, 15
	.loc	1 33 26                         ; groupnorm_aot.py:33:26
	s_cmp_lt_i32 s0, s13
	s_cselect_b64 s[0:1], -1, 0
	v_writelane_b32 v205, s0, 8
	v_writelane_b32 v205, s1, 9
	.loc	1 36 41                         ; groupnorm_aot.py:36:41
	s_and_b64 s[2:3], vcc, s[0:1]
	.loc	1 41 16                         ; groupnorm_aot.py:41:16
	v_mov_b32_e32 v6, s81
	v_add_co_u32_e64 v4, s[0:1], s80, v4
	v_addc_co_u32_e64 v5, s[0:1], v5, v6, s[0:1]
	.loc	1 44 20                         ; groupnorm_aot.py:44:20
	s_mov_b64 s[0:1], exec
	v_writelane_b32 v205, s2, 10
	v_writelane_b32 v205, s3, 11
	s_and_b64 s[2:3], s[0:1], s[2:3]
	s_mov_b64 exec, s[2:3]
	s_cbranch_execz .LBB0_32
; %bb.31:
	global_load_dword v20, v[4:5], off
.LBB0_32:
	.loc	1 0 20 is_stmt 0                ; groupnorm_aot.py:0:20
	s_or_b64 exec, exec, s[0:1]
	.loc	1 32 37 is_stmt 1               ; groupnorm_aot.py:32:37
	s_add_i32 s0, s86, 16
	.loc	1 33 26                         ; groupnorm_aot.py:33:26
	s_cmp_lt_i32 s0, s13
	s_cselect_b64 s[0:1], -1, 0
	v_writelane_b32 v205, s0, 12
	v_writelane_b32 v205, s1, 13
	.loc	1 36 41                         ; groupnorm_aot.py:36:41
	s_and_b64 s[2:3], vcc, s[0:1]
	.loc	1 41 16                         ; groupnorm_aot.py:41:16
	v_mov_b32_e32 v6, s81
	v_add_co_u32_e64 v4, s[0:1], s80, v4
	.loc	1 44 20                         ; groupnorm_aot.py:44:20
	v_mov_b32_e32 v22, 0
	.loc	1 41 16                         ; groupnorm_aot.py:41:16
	v_addc_co_u32_e64 v5, s[0:1], v5, v6, s[0:1]
	v_mov_b32_e32 v23, v22
	.loc	1 44 20                         ; groupnorm_aot.py:44:20
	s_mov_b64 s[0:1], exec
	v_writelane_b32 v205, s2, 14
	v_writelane_b32 v205, s3, 15
	s_and_b64 s[2:3], s[0:1], s[2:3]
	s_mov_b64 exec, s[2:3]
	s_cbranch_execz .LBB0_34
; %bb.33:
	global_load_dword v23, v[4:5], off
.LBB0_34:
	.loc	1 0 20 is_stmt 0                ; groupnorm_aot.py:0:20
	s_or_b64 exec, exec, s[0:1]
	.loc	1 32 37 is_stmt 1               ; groupnorm_aot.py:32:37
	s_add_i32 s0, s86, 17
	.loc	1 33 26                         ; groupnorm_aot.py:33:26
	s_cmp_lt_i32 s0, s13
	s_cselect_b64 s[0:1], -1, 0
	v_writelane_b32 v205, s0, 16
	v_writelane_b32 v205, s1, 17
	.loc	1 36 41                         ; groupnorm_aot.py:36:41
	s_and_b64 s[2:3], vcc, s[0:1]
	.loc	1 41 16                         ; groupnorm_aot.py:41:16
	v_mov_b32_e32 v6, s81
	;; [unrolled: 54-line block ×4, first 2 shown]
	v_add_co_u32_e64 v4, s[0:1], s80, v4
	v_addc_co_u32_e64 v5, s[0:1], v5, v6, s[0:1]
	.loc	1 44 20                         ; groupnorm_aot.py:44:20
	s_mov_b64 s[0:1], exec
	v_writelane_b32 v205, s2, 34
	v_writelane_b32 v205, s3, 35
	s_and_b64 s[2:3], s[0:1], s[2:3]
	s_mov_b64 exec, s[2:3]
	s_cbranch_execz .LBB0_44
; %bb.43:
	global_load_dword v26, v[4:5], off
.LBB0_44:
	.loc	1 0 20 is_stmt 0                ; groupnorm_aot.py:0:20
	s_or_b64 exec, exec, s[0:1]
	.loc	1 32 37 is_stmt 1               ; groupnorm_aot.py:32:37
	s_add_i32 s0, s86, 22
	.loc	1 33 26                         ; groupnorm_aot.py:33:26
	s_cmp_lt_i32 s0, s13
	.loc	1 41 16                         ; groupnorm_aot.py:41:16
	v_mov_b32_e32 v6, s81
	v_add_co_u32_e64 v4, s[0:1], s80, v4
	.loc	1 44 20                         ; groupnorm_aot.py:44:20
	v_mov_b32_e32 v28, 0
	.loc	1 33 26                         ; groupnorm_aot.py:33:26
	s_cselect_b64 s[92:93], -1, 0
	.loc	1 41 16                         ; groupnorm_aot.py:41:16
	v_addc_co_u32_e64 v5, s[0:1], v5, v6, s[0:1]
	v_mov_b32_e32 v29, v28
	.loc	1 36 41                         ; groupnorm_aot.py:36:41
	s_and_b64 s[2:3], vcc, s[92:93]
	.loc	1 44 20                         ; groupnorm_aot.py:44:20
	s_mov_b64 s[0:1], exec
	v_writelane_b32 v205, s2, 36
	v_writelane_b32 v205, s3, 37
	s_and_b64 s[2:3], s[0:1], s[2:3]
	s_mov_b64 exec, s[2:3]
	s_cbranch_execz .LBB0_46
; %bb.45:
	global_load_dword v29, v[4:5], off
.LBB0_46:
	.loc	1 0 20 is_stmt 0                ; groupnorm_aot.py:0:20
	s_or_b64 exec, exec, s[0:1]
	.loc	1 32 37 is_stmt 1               ; groupnorm_aot.py:32:37
	s_add_i32 s0, s86, 23
	.loc	1 33 26                         ; groupnorm_aot.py:33:26
	s_cmp_lt_i32 s0, s13
	.loc	1 41 16                         ; groupnorm_aot.py:41:16
	v_mov_b32_e32 v6, s81
	v_add_co_u32_e64 v4, s[0:1], s80, v4
	.loc	1 33 26                         ; groupnorm_aot.py:33:26
	s_cselect_b64 s[94:95], -1, 0
	.loc	1 41 16                         ; groupnorm_aot.py:41:16
	v_addc_co_u32_e64 v5, s[0:1], v5, v6, s[0:1]
	.loc	1 36 41                         ; groupnorm_aot.py:36:41
	s_and_b64 s[2:3], vcc, s[94:95]
	.loc	1 44 20                         ; groupnorm_aot.py:44:20
	s_mov_b64 s[0:1], exec
	v_writelane_b32 v205, s2, 38
	v_writelane_b32 v205, s3, 39
	s_and_b64 s[2:3], s[0:1], s[2:3]
	s_mov_b64 exec, s[2:3]
	s_cbranch_execz .LBB0_48
; %bb.47:
	global_load_dword v28, v[4:5], off
.LBB0_48:
	.loc	1 0 20 is_stmt 0                ; groupnorm_aot.py:0:20
	s_or_b64 exec, exec, s[0:1]
	.loc	1 32 37 is_stmt 1               ; groupnorm_aot.py:32:37
	s_add_i32 s0, s86, 24
	.loc	1 33 26                         ; groupnorm_aot.py:33:26
	s_cmp_lt_i32 s0, s13
	s_cselect_b64 s[0:1], -1, 0
	v_writelane_b32 v205, s0, 40
	v_writelane_b32 v205, s1, 41
	.loc	1 36 41                         ; groupnorm_aot.py:36:41
	s_and_b64 s[2:3], vcc, s[0:1]
	.loc	1 41 16                         ; groupnorm_aot.py:41:16
	v_mov_b32_e32 v6, s81
	v_add_co_u32_e64 v4, s[0:1], s80, v4
	.loc	1 44 20                         ; groupnorm_aot.py:44:20
	v_mov_b32_e32 v30, 0
	.loc	1 41 16                         ; groupnorm_aot.py:41:16
	v_addc_co_u32_e64 v5, s[0:1], v5, v6, s[0:1]
	v_mov_b32_e32 v31, v30
	.loc	1 44 20                         ; groupnorm_aot.py:44:20
	s_mov_b64 s[0:1], exec
	v_writelane_b32 v205, s2, 42
	v_writelane_b32 v205, s3, 43
	s_and_b64 s[2:3], s[0:1], s[2:3]
	s_mov_b64 exec, s[2:3]
	s_cbranch_execz .LBB0_50
; %bb.49:
	global_load_dword v31, v[4:5], off
.LBB0_50:
	.loc	1 0 20 is_stmt 0                ; groupnorm_aot.py:0:20
	s_or_b64 exec, exec, s[0:1]
	.loc	1 32 37 is_stmt 1               ; groupnorm_aot.py:32:37
	s_add_i32 s0, s86, 25
	.loc	1 33 26                         ; groupnorm_aot.py:33:26
	s_cmp_lt_i32 s0, s13
	.loc	1 41 16                         ; groupnorm_aot.py:41:16
	v_mov_b32_e32 v6, s81
	v_add_co_u32_e64 v4, s[0:1], s80, v4
	.loc	1 33 26                         ; groupnorm_aot.py:33:26
	s_cselect_b64 s[14:15], -1, 0
	.loc	1 41 16                         ; groupnorm_aot.py:41:16
	v_addc_co_u32_e64 v5, s[0:1], v5, v6, s[0:1]
	.loc	1 36 41                         ; groupnorm_aot.py:36:41
	s_and_b64 s[2:3], vcc, s[14:15]
	.loc	1 44 20                         ; groupnorm_aot.py:44:20
	s_mov_b64 s[0:1], exec
	v_writelane_b32 v205, s2, 44
	v_writelane_b32 v205, s3, 45
	s_and_b64 s[2:3], s[0:1], s[2:3]
	s_mov_b64 exec, s[2:3]
	s_cbranch_execz .LBB0_52
; %bb.51:
	global_load_dword v30, v[4:5], off
.LBB0_52:
	.loc	1 0 20 is_stmt 0                ; groupnorm_aot.py:0:20
	s_or_b64 exec, exec, s[0:1]
	.loc	1 32 37 is_stmt 1               ; groupnorm_aot.py:32:37
	s_add_i32 s0, s86, 26
	.loc	1 33 26                         ; groupnorm_aot.py:33:26
	s_cmp_lt_i32 s0, s13
	.loc	1 41 16                         ; groupnorm_aot.py:41:16
	v_mov_b32_e32 v6, s81
	v_add_co_u32_e64 v4, s[0:1], s80, v4
	.loc	1 44 20                         ; groupnorm_aot.py:44:20
	v_mov_b32_e32 v32, 0
	.loc	1 33 26                         ; groupnorm_aot.py:33:26
	s_cselect_b64 s[4:5], -1, 0
	.loc	1 41 16                         ; groupnorm_aot.py:41:16
	v_addc_co_u32_e64 v5, s[0:1], v5, v6, s[0:1]
	v_mov_b32_e32 v33, v32
	.loc	1 36 41                         ; groupnorm_aot.py:36:41
	s_and_b64 s[2:3], vcc, s[4:5]
	.loc	1 44 20                         ; groupnorm_aot.py:44:20
	s_mov_b64 s[0:1], exec
	v_writelane_b32 v205, s2, 46
	v_writelane_b32 v205, s3, 47
	s_and_b64 s[2:3], s[0:1], s[2:3]
	s_mov_b64 exec, s[2:3]
	s_cbranch_execz .LBB0_54
; %bb.53:
	global_load_dword v33, v[4:5], off
.LBB0_54:
	.loc	1 0 20 is_stmt 0                ; groupnorm_aot.py:0:20
	s_or_b64 exec, exec, s[0:1]
	.loc	1 32 37 is_stmt 1               ; groupnorm_aot.py:32:37
	s_add_i32 s0, s86, 27
	.loc	1 33 26                         ; groupnorm_aot.py:33:26
	s_cmp_lt_i32 s0, s13
	.loc	1 41 16                         ; groupnorm_aot.py:41:16
	v_mov_b32_e32 v6, s81
	v_add_co_u32_e64 v4, s[0:1], s80, v4
	.loc	1 33 26                         ; groupnorm_aot.py:33:26
	s_cselect_b64 s[8:9], -1, 0
	.loc	1 41 16                         ; groupnorm_aot.py:41:16
	v_addc_co_u32_e64 v5, s[0:1], v5, v6, s[0:1]
	.loc	1 36 41                         ; groupnorm_aot.py:36:41
	s_and_b64 s[2:3], vcc, s[8:9]
	.loc	1 44 20                         ; groupnorm_aot.py:44:20
	s_mov_b64 s[0:1], exec
	v_writelane_b32 v205, s2, 48
	v_writelane_b32 v205, s3, 49
	s_and_b64 s[2:3], s[0:1], s[2:3]
	s_mov_b64 exec, s[2:3]
	s_cbranch_execz .LBB0_56
; %bb.55:
	global_load_dword v32, v[4:5], off
.LBB0_56:
	.loc	1 0 20 is_stmt 0                ; groupnorm_aot.py:0:20
	s_or_b64 exec, exec, s[0:1]
	.loc	1 32 37 is_stmt 1               ; groupnorm_aot.py:32:37
	s_add_i32 s0, s86, 28
	.loc	1 33 26                         ; groupnorm_aot.py:33:26
	s_cmp_lt_i32 s0, s13
	.loc	1 41 16                         ; groupnorm_aot.py:41:16
	v_mov_b32_e32 v6, s81
	v_add_co_u32_e64 v4, s[0:1], s80, v4
	.loc	1 44 20                         ; groupnorm_aot.py:44:20
	v_mov_b32_e32 v34, 0
	.loc	1 33 26                         ; groupnorm_aot.py:33:26
	s_cselect_b64 s[46:47], -1, 0
	.loc	1 41 16                         ; groupnorm_aot.py:41:16
	v_addc_co_u32_e64 v5, s[0:1], v5, v6, s[0:1]
	v_mov_b32_e32 v35, v34
	.loc	1 36 41                         ; groupnorm_aot.py:36:41
	s_and_b64 s[2:3], vcc, s[46:47]
	;; [unrolled: 53-line block ×5, first 2 shown]
	.loc	1 44 20                         ; groupnorm_aot.py:44:20
	s_mov_b64 s[0:1], exec
	v_writelane_b32 v205, s2, 62
	v_writelane_b32 v205, s3, 63
	s_and_b64 s[2:3], s[0:1], s[2:3]
	s_mov_b64 exec, s[2:3]
	s_cbranch_execz .LBB0_70
; %bb.69:
	global_load_dword v41, v[4:5], off
.LBB0_70:
	.loc	1 0 20 is_stmt 0                ; groupnorm_aot.py:0:20
	s_or_b64 exec, exec, s[0:1]
	.loc	1 32 37 is_stmt 1               ; groupnorm_aot.py:32:37
	s_add_i32 s0, s86, 35
	.loc	1 33 26                         ; groupnorm_aot.py:33:26
	s_cmp_lt_i32 s0, s13
	.loc	1 41 16                         ; groupnorm_aot.py:41:16
	v_mov_b32_e32 v6, s81
	v_add_co_u32_e64 v4, s[0:1], s80, v4
	.loc	1 33 26                         ; groupnorm_aot.py:33:26
	s_cselect_b64 s[16:17], -1, 0
	.loc	1 41 16                         ; groupnorm_aot.py:41:16
	v_addc_co_u32_e64 v5, s[0:1], v5, v6, s[0:1]
	.loc	1 36 41                         ; groupnorm_aot.py:36:41
	s_and_b64 s[2:3], vcc, s[16:17]
	.loc	1 44 20                         ; groupnorm_aot.py:44:20
	s_mov_b64 s[0:1], exec
                                        ; implicit-def: $vgpr204 : SGPR spill to VGPR lane
	v_writelane_b32 v204, s2, 0
	v_writelane_b32 v204, s3, 1
	s_and_b64 s[2:3], s[0:1], s[2:3]
	s_mov_b64 exec, s[2:3]
	s_cbranch_execz .LBB0_72
; %bb.71:
	global_load_dword v40, v[4:5], off
.LBB0_72:
	.loc	1 0 20 is_stmt 0                ; groupnorm_aot.py:0:20
	s_or_b64 exec, exec, s[0:1]
	.loc	1 32 37 is_stmt 1               ; groupnorm_aot.py:32:37
	s_add_i32 s0, s86, 36
	.loc	1 33 26                         ; groupnorm_aot.py:33:26
	s_cmp_lt_i32 s0, s13
	.loc	1 41 16                         ; groupnorm_aot.py:41:16
	v_mov_b32_e32 v6, s81
	v_add_co_u32_e64 v4, s[0:1], s80, v4
	.loc	1 44 20                         ; groupnorm_aot.py:44:20
	v_mov_b32_e32 v42, 0
	.loc	1 33 26                         ; groupnorm_aot.py:33:26
	s_cselect_b64 s[26:27], -1, 0
	.loc	1 41 16                         ; groupnorm_aot.py:41:16
	v_addc_co_u32_e64 v5, s[0:1], v5, v6, s[0:1]
	v_mov_b32_e32 v43, v42
	.loc	1 36 41                         ; groupnorm_aot.py:36:41
	s_and_b64 s[2:3], vcc, s[26:27]
	.loc	1 44 20                         ; groupnorm_aot.py:44:20
	s_mov_b64 s[0:1], exec
	v_writelane_b32 v204, s2, 2
	v_writelane_b32 v204, s3, 3
	s_and_b64 s[2:3], s[0:1], s[2:3]
	s_mov_b64 exec, s[2:3]
	s_cbranch_execz .LBB0_74
; %bb.73:
	global_load_dword v43, v[4:5], off
.LBB0_74:
	.loc	1 0 20 is_stmt 0                ; groupnorm_aot.py:0:20
	s_or_b64 exec, exec, s[0:1]
	.loc	1 32 37 is_stmt 1               ; groupnorm_aot.py:32:37
	s_add_i32 s0, s86, 37
	.loc	1 33 26                         ; groupnorm_aot.py:33:26
	s_cmp_lt_i32 s0, s13
	.loc	1 41 16                         ; groupnorm_aot.py:41:16
	v_mov_b32_e32 v6, s81
	v_add_co_u32_e64 v4, s[0:1], s80, v4
	.loc	1 33 26                         ; groupnorm_aot.py:33:26
	s_cselect_b64 s[28:29], -1, 0
	.loc	1 41 16                         ; groupnorm_aot.py:41:16
	v_addc_co_u32_e64 v5, s[0:1], v5, v6, s[0:1]
	.loc	1 36 41                         ; groupnorm_aot.py:36:41
	s_and_b64 s[2:3], vcc, s[28:29]
	.loc	1 44 20                         ; groupnorm_aot.py:44:20
	s_mov_b64 s[0:1], exec
	v_writelane_b32 v204, s2, 4
	v_writelane_b32 v204, s3, 5
	s_and_b64 s[2:3], s[0:1], s[2:3]
	s_mov_b64 exec, s[2:3]
	s_cbranch_execz .LBB0_76
; %bb.75:
	global_load_dword v42, v[4:5], off
.LBB0_76:
	.loc	1 0 20 is_stmt 0                ; groupnorm_aot.py:0:20
	s_or_b64 exec, exec, s[0:1]
	.loc	1 32 37 is_stmt 1               ; groupnorm_aot.py:32:37
	s_add_i32 s0, s86, 38
	.loc	1 33 26                         ; groupnorm_aot.py:33:26
	s_cmp_lt_i32 s0, s13
	.loc	1 41 16                         ; groupnorm_aot.py:41:16
	v_mov_b32_e32 v6, s81
	v_add_co_u32_e64 v4, s[0:1], s80, v4
	.loc	1 44 20                         ; groupnorm_aot.py:44:20
	v_mov_b32_e32 v44, 0
	.loc	1 33 26                         ; groupnorm_aot.py:33:26
	s_cselect_b64 s[30:31], -1, 0
	.loc	1 41 16                         ; groupnorm_aot.py:41:16
	v_addc_co_u32_e64 v5, s[0:1], v5, v6, s[0:1]
	v_mov_b32_e32 v45, v44
	.loc	1 36 41                         ; groupnorm_aot.py:36:41
	s_and_b64 s[2:3], vcc, s[30:31]
	.loc	1 44 20                         ; groupnorm_aot.py:44:20
	s_mov_b64 s[0:1], exec
	v_writelane_b32 v204, s2, 6
	v_writelane_b32 v204, s3, 7
	s_and_b64 s[2:3], s[0:1], s[2:3]
	s_mov_b64 exec, s[2:3]
	s_cbranch_execz .LBB0_78
; %bb.77:
	global_load_dword v45, v[4:5], off
.LBB0_78:
	.loc	1 0 20 is_stmt 0                ; groupnorm_aot.py:0:20
	s_or_b64 exec, exec, s[0:1]
	.loc	1 32 37 is_stmt 1               ; groupnorm_aot.py:32:37
	s_add_i32 s0, s86, 39
	.loc	1 33 26                         ; groupnorm_aot.py:33:26
	s_cmp_lt_i32 s0, s13
	.loc	1 41 16                         ; groupnorm_aot.py:41:16
	v_mov_b32_e32 v6, s81
	v_add_co_u32_e64 v4, s[0:1], s80, v4
	.loc	1 33 26                         ; groupnorm_aot.py:33:26
	s_cselect_b64 s[34:35], -1, 0
	.loc	1 41 16                         ; groupnorm_aot.py:41:16
	v_addc_co_u32_e64 v5, s[0:1], v5, v6, s[0:1]
	.loc	1 36 41                         ; groupnorm_aot.py:36:41
	s_and_b64 s[2:3], vcc, s[34:35]
	.loc	1 44 20                         ; groupnorm_aot.py:44:20
	s_mov_b64 s[0:1], exec
	;; [unrolled: 53-line block ×13, first 2 shown]
	v_writelane_b32 v204, s2, 52
	v_writelane_b32 v204, s3, 53
	s_and_b64 s[2:3], s[0:1], s[2:3]
	s_mov_b64 exec, s[2:3]
	s_cbranch_execz .LBB0_124
; %bb.123:
	global_load_dword v66, v[4:5], off
.LBB0_124:
	.loc	1 0 20 is_stmt 0                ; groupnorm_aot.py:0:20
	s_or_b64 exec, exec, s[0:1]
	.loc	1 32 37 is_stmt 1               ; groupnorm_aot.py:32:37
	s_add_i32 s0, s86, 62
	.loc	1 33 26                         ; groupnorm_aot.py:33:26
	s_cmp_lt_i32 s0, s13
	.loc	1 41 16                         ; groupnorm_aot.py:41:16
	v_mov_b32_e32 v6, s81
	v_add_co_u32_e64 v4, s[0:1], s80, v4
	.loc	1 44 20                         ; groupnorm_aot.py:44:20
	v_mov_b32_e32 v69, 0
	.loc	1 33 26                         ; groupnorm_aot.py:33:26
	s_cselect_b64 s[84:85], -1, 0
	.loc	1 41 16                         ; groupnorm_aot.py:41:16
	v_addc_co_u32_e64 v5, s[0:1], v5, v6, s[0:1]
	v_mov_b32_e32 v68, v69
	.loc	1 36 41                         ; groupnorm_aot.py:36:41
	s_and_b64 s[2:3], vcc, s[84:85]
	.loc	1 44 20                         ; groupnorm_aot.py:44:20
	s_mov_b64 s[0:1], exec
	v_writelane_b32 v204, s2, 54
	v_writelane_b32 v204, s3, 55
	s_and_b64 s[2:3], s[0:1], s[2:3]
	s_mov_b64 exec, s[2:3]
	s_cbranch_execz .LBB0_126
; %bb.125:
	global_load_dword v68, v[4:5], off
.LBB0_126:
	.loc	1 0 20 is_stmt 0                ; groupnorm_aot.py:0:20
	s_or_b64 exec, exec, s[0:1]
	.loc	1 32 37 is_stmt 1               ; groupnorm_aot.py:32:37
	s_add_i32 s86, s86, 63
	.loc	1 33 26                         ; groupnorm_aot.py:33:26
	s_cmp_lt_i32 s86, s13
	s_cselect_b64 s[86:87], -1, 0
	.loc	1 36 41                         ; groupnorm_aot.py:36:41
	s_and_b64 s[2:3], vcc, s[86:87]
	.loc	1 44 20                         ; groupnorm_aot.py:44:20
	s_mov_b64 s[0:1], exec
	v_writelane_b32 v204, s2, 56
	v_writelane_b32 v204, s3, 57
	s_and_b64 s[2:3], s[0:1], s[2:3]
	s_mov_b64 exec, s[2:3]
	s_cbranch_execz .LBB0_128
; %bb.127:
	.loc	1 41 16                         ; groupnorm_aot.py:41:16
	v_mov_b32_e32 v6, s81
	v_add_co_u32_e32 v4, vcc, s80, v4
	v_addc_co_u32_e32 v5, vcc, v5, v6, vcc
	.loc	1 44 20                         ; groupnorm_aot.py:44:20
	global_load_dword v69, v[4:5], off
.LBB0_128:
	.loc	1 0 20 is_stmt 0                ; groupnorm_aot.py:0:20
	s_or_b64 exec, exec, s[0:1]
.Ltmp2:
	.file	2 "/root/.local/lib/python3.13/site-packages/triton/language" "standard.py"
	.loc	2 263 15 is_stmt 1              ; standard.py:263:15 @[ standard.py:293:36 @[ groupnorm_aot.py:45:18 ] ]
	s_waitcnt vmcnt(0)
	v_add_f32_e32 v5, v7, v1
	v_add_f32_e32 v5, v5, v9
	v_add_f32_e32 v5, v5, v8
	v_add_f32_e32 v5, v5, v11
	v_add_f32_e32 v5, v5, v10
	v_add_f32_e32 v5, v5, v13
	v_add_f32_e32 v5, v5, v12
	v_add_f32_e32 v5, v5, v15
	v_add_f32_e32 v5, v5, v14
	v_add_f32_e32 v5, v5, v17
	v_add_f32_e32 v5, v5, v16
	v_add_f32_e32 v5, v5, v19
	v_add_f32_e32 v5, v5, v18
	v_add_f32_e32 v5, v5, v21
	v_add_f32_e32 v5, v5, v20
	v_add_f32_e32 v5, v5, v23
	v_add_f32_e32 v5, v5, v22
	v_add_f32_e32 v5, v5, v25
	v_add_f32_e32 v5, v5, v24
	v_add_f32_e32 v5, v5, v27
	v_add_f32_e32 v5, v5, v26
	v_add_f32_e32 v5, v5, v29
	v_add_f32_e32 v5, v5, v28
	v_add_f32_e32 v5, v5, v31
	v_add_f32_e32 v5, v5, v30
	v_add_f32_e32 v5, v5, v33
	v_add_f32_e32 v5, v5, v32
	v_add_f32_e32 v5, v5, v35
	v_add_f32_e32 v5, v5, v34
	v_add_f32_e32 v5, v5, v37
	v_add_f32_e32 v5, v5, v36
	v_add_f32_e32 v5, v5, v39
	v_add_f32_e32 v5, v5, v38
	v_add_f32_e32 v5, v5, v41
	v_add_f32_e32 v5, v5, v40
	v_add_f32_e32 v5, v5, v43
	v_add_f32_e32 v5, v5, v42
	v_add_f32_e32 v5, v5, v45
	v_add_f32_e32 v5, v5, v44
	v_add_f32_e32 v5, v5, v47
	v_add_f32_e32 v5, v5, v46
	v_add_f32_e32 v5, v5, v49
	v_add_f32_e32 v5, v5, v48
	v_add_f32_e32 v5, v5, v51
	v_add_f32_e32 v5, v5, v50
	v_add_f32_e32 v5, v5, v53
	v_add_f32_e32 v5, v5, v52
	v_add_f32_e32 v5, v5, v55
	v_add_f32_e32 v5, v5, v54
	v_add_f32_e32 v5, v5, v57
	v_add_f32_e32 v5, v5, v56
	v_add_f32_e32 v5, v5, v59
	v_add_f32_e32 v5, v5, v58
	v_add_f32_e32 v5, v5, v61
	v_add_f32_e32 v5, v5, v60
	v_add_f32_e32 v5, v5, v63
	v_add_f32_e32 v5, v5, v62
	v_add_f32_e32 v5, v5, v65
	v_add_f32_e32 v5, v5, v64
	v_add_f32_e32 v5, v5, v67
	v_add_f32_e32 v5, v5, v66
	v_add_f32_e32 v5, v5, v68
	v_add_f32_e32 v5, v5, v69
.Ltmp3:
	.loc	1 64 23                         ; groupnorm_aot.py:64:23
	v_lshrrev_b32_e32 v4, 6, v0
.Ltmp4:
	.loc	2 293 36                        ; standard.py:293:36 @[ groupnorm_aot.py:45:18 ]
	v_lshl_add_u32 v72, v4, 2, 0
.Ltmp5:
	.loc	2 263 15                        ; standard.py:263:15 @[ standard.py:293:36 @[ groupnorm_aot.py:45:18 ] ]
	v_add_f32_dpp v5, v5, v5 row_shr:8 row_mask:0xf bank_mask:0xf bound_ctrl:1
	s_nop 1
	v_add_f32_dpp v5, v5, v5 row_shr:4 row_mask:0xf bank_mask:0xf bound_ctrl:1
	s_nop 1
	;; [unrolled: 2-line block ×3, first 2 shown]
	v_add_f32_dpp v5, v5, v5 row_shr:1 row_mask:0xf bank_mask:0xf bound_ctrl:1
.Ltmp6:
	.loc	2 293 36                        ; standard.py:293:36 @[ groupnorm_aot.py:45:18 ]
	v_mov_b32_e32 v6, v5
	s_nop 1
	v_mov_b32_dpp v6, v6 row_bcast:15 row_mask:0xa bank_mask:0xf bound_ctrl:1
.Ltmp7:
	.loc	2 263 15                        ; standard.py:263:15 @[ standard.py:293:36 @[ groupnorm_aot.py:45:18 ] ]
	v_add_f32_e32 v6, v6, v5
.Ltmp8:
	.loc	1 35 76                         ; groupnorm_aot.py:35:76
	v_and_b32_e32 v5, 63, v0
.Ltmp9:
	.loc	2 293 36                        ; standard.py:293:36 @[ groupnorm_aot.py:45:18 ]
	v_cmp_eq_u32_e64 s[0:1], 0, v5
.Ltmp10:
	.loc	2 263 15                        ; standard.py:263:15 @[ standard.py:293:36 @[ groupnorm_aot.py:45:18 ] ]
	v_add_f32_dpp v6, v6, v6 row_bcast:31 row_mask:0xf bank_mask:0xf bound_ctrl:1
.Ltmp11:
	.loc	2 293 36                        ; standard.py:293:36 @[ groupnorm_aot.py:45:18 ]
	v_readlane_b32 s13, v6, 63
	s_and_saveexec_b64 s[2:3], s[0:1]
; %bb.129:
	v_mov_b32_e32 v6, s13
	ds_write_b32 v72, v6
; %bb.130:
	.loc	2 0 36 is_stmt 0                ; standard.py:0:36
	s_or_b64 exec, exec, s[2:3]
	.loc	2 293 36                        ; standard.py:293:36 @[ groupnorm_aot.py:45:18 ]
	v_cmp_gt_u32_e64 s[2:3], 4, v0
	v_lshl_add_u32 v70, v0, 2, 0
.Ltmp12:
	.loc	1 45 18 is_stmt 1               ; groupnorm_aot.py:45:18
	v_mov_b32_e32 v6, 0
.Ltmp13:
	.loc	2 293 36                        ; standard.py:293:36 @[ groupnorm_aot.py:45:18 ]
	s_waitcnt lgkmcnt(0)
	s_barrier
	s_and_saveexec_b64 s[88:89], s[2:3]
; %bb.131:
	ds_read_b32 v6, v70
; %bb.132:
	.loc	2 0 36 is_stmt 0                ; standard.py:0:36
	s_or_b64 exec, exec, s[88:89]
	.loc	2 293 36                        ; standard.py:293:36 @[ groupnorm_aot.py:45:18 ]
	s_waitcnt lgkmcnt(0)
	v_mov_b32_e32 v71, v6
	v_and_b32_e32 v0, 3, v0
	v_cmp_eq_u32_e32 vcc, 0, v0
	v_mov_b32_dpp v71, v71 quad_perm:[2,3,0,1] row_mask:0xf bank_mask:0xf
.Ltmp14:
	.loc	2 263 15 is_stmt 1              ; standard.py:263:15 @[ standard.py:293:36 @[ groupnorm_aot.py:45:18 ] ]
	v_add_f32_e32 v6, v6, v71
.Ltmp15:
	.loc	2 293 36                        ; standard.py:293:36 @[ groupnorm_aot.py:45:18 ]
	v_mov_b32_e32 v71, v6
	s_and_b64 s[88:89], s[2:3], vcc
	s_nop 0
	v_mov_b32_dpp v71, v71 quad_perm:[1,0,3,2] row_mask:0xf bank_mask:0xf
	s_and_saveexec_b64 s[90:91], s[88:89]
; %bb.133:
	.loc	2 0 36 is_stmt 0                ; standard.py:0:36
	v_add_f32_e32 v0, v6, v71
	.loc	2 293 36                        ; standard.py:293:36 @[ groupnorm_aot.py:45:18 ]
	ds_write_b32 v70, v0
; %bb.134:
	.loc	2 0 36                          ; standard.py:0:36
	s_or_b64 exec, exec, s[90:91]
	.loc	2 293 36                        ; standard.py:293:36 @[ groupnorm_aot.py:45:18 ]
	v_mov_b32_e32 v6, 0
	s_waitcnt lgkmcnt(0)
	s_barrier
	ds_read_b32 v6, v6
.Ltmp16:
	.loc	1 45 27 is_stmt 1               ; groupnorm_aot.py:45:27
	v_cvt_f32_i32_e32 v0, s33
.Ltmp17:
	.loc	2 293 36                        ; standard.py:293:36 @[ groupnorm_aot.py:48:17 ]
	s_waitcnt lgkmcnt(0)
	s_barrier
.Ltmp18:
	.loc	1 45 27                         ; groupnorm_aot.py:45:27
	v_div_scale_f32 v71, s[90:91], v0, v0, v6
	v_rcp_f32_e32 v73, v71
	.loc	1 46 40                         ; groupnorm_aot.py:46:40
	v_readlane_b32 s90, v206, 14
	v_readlane_b32 s91, v206, 15
	.loc	1 45 27                         ; groupnorm_aot.py:45:27
	v_fma_f32 v74, -v71, v73, 1.0
	v_fmac_f32_e32 v73, v74, v73
	v_div_scale_f32 v74, vcc, v6, v0, v6
	v_mul_f32_e32 v75, v74, v73
	v_fma_f32 v76, -v71, v75, v74
	v_fmac_f32_e32 v75, v76, v73
	v_fma_f32 v71, -v71, v75, v74
	v_div_fmas_f32 v71, v71, v73, v75
	v_div_fixup_f32 v6, v71, v0, v6
	.loc	1 46 34                         ; groupnorm_aot.py:46:34
	v_sub_f32_e32 v7, v7, v6
	.loc	1 46 40 is_stmt 0               ; groupnorm_aot.py:46:40
	v_cndmask_b32_e64 v71, 0, v7, s[90:91]
	v_readlane_b32 s90, v206, 18
	.loc	1 46 34                         ; groupnorm_aot.py:46:34
	v_sub_f32_e32 v1, v1, v6
	.loc	1 46 40                         ; groupnorm_aot.py:46:40
	v_readlane_b32 s91, v206, 19
	.loc	1 46 34                         ; groupnorm_aot.py:46:34
	v_sub_f32_e32 v104, v69, v6
	.loc	1 46 40                         ; groupnorm_aot.py:46:40
	v_cndmask_b32_e64 v69, 0, v1, s[90:91]
	v_readlane_b32 s90, v206, 22
	.loc	1 46 34                         ; groupnorm_aot.py:46:34
	v_sub_f32_e32 v9, v9, v6
	.loc	1 46 40                         ; groupnorm_aot.py:46:40
	v_readlane_b32 s91, v206, 23
	.loc	1 46 34                         ; groupnorm_aot.py:46:34
	v_sub_f32_e32 v103, v68, v6
	.loc	1 46 40                         ; groupnorm_aot.py:46:40
	;; [unrolled: 9-line block ×31, first 2 shown]
	v_cndmask_b32_e64 v39, 0, v36, s[90:91]
	v_readlane_b32 s90, v205, 58
	v_readlane_b32 s91, v205, 59
	.loc	1 46 34                         ; groupnorm_aot.py:46:34
	v_sub_f32_e32 v74, v38, v6
	.loc	1 46 40                         ; groupnorm_aot.py:46:40
	v_cndmask_b32_e64 v38, 0, v73, s[90:91]
	v_readlane_b32 s90, v205, 60
	.loc	1 48 21 is_stmt 1               ; groupnorm_aot.py:48:21
	v_mul_f32_e32 v1, v69, v69
	.loc	1 46 40                         ; groupnorm_aot.py:46:40
	v_readlane_b32 s91, v205, 61
.Ltmp19:
	.loc	2 263 15                        ; standard.py:263:15 @[ standard.py:293:36 @[ groupnorm_aot.py:48:17 ] ]
	v_fmac_f32_e32 v1, v71, v71
.Ltmp20:
	.loc	1 46 40                         ; groupnorm_aot.py:46:40
	v_cndmask_b32_e64 v37, 0, v74, s[90:91]
	v_readlane_b32 s90, v205, 62
.Ltmp21:
	.loc	2 263 15                        ; standard.py:263:15 @[ standard.py:293:36 @[ groupnorm_aot.py:48:17 ] ]
	v_fmac_f32_e32 v1, v68, v68
.Ltmp22:
	.loc	1 46 40                         ; groupnorm_aot.py:46:40
	v_readlane_b32 s91, v205, 63
.Ltmp23:
	.loc	2 263 15                        ; standard.py:263:15 @[ standard.py:293:36 @[ groupnorm_aot.py:48:17 ] ]
	v_fmac_f32_e32 v1, v67, v67
.Ltmp24:
	.loc	1 46 40                         ; groupnorm_aot.py:46:40
	v_cndmask_b32_e64 v36, 0, v75, s[90:91]
	v_readlane_b32 s90, v204, 0
.Ltmp25:
	.loc	2 263 15                        ; standard.py:263:15 @[ standard.py:293:36 @[ groupnorm_aot.py:48:17 ] ]
	v_fmac_f32_e32 v1, v66, v66
.Ltmp26:
	.loc	1 46 40                         ; groupnorm_aot.py:46:40
	v_readlane_b32 s91, v204, 1
.Ltmp27:
	.loc	2 263 15                        ; standard.py:263:15 @[ standard.py:293:36 @[ groupnorm_aot.py:48:17 ] ]
	v_fmac_f32_e32 v1, v65, v65
.Ltmp28:
	.loc	1 46 40                         ; groupnorm_aot.py:46:40
	v_cndmask_b32_e64 v35, 0, v76, s[90:91]
	v_readlane_b32 s90, v204, 2
.Ltmp29:
	.loc	2 263 15                        ; standard.py:263:15 @[ standard.py:293:36 @[ groupnorm_aot.py:48:17 ] ]
	v_fmac_f32_e32 v1, v64, v64
.Ltmp30:
	.loc	1 46 40                         ; groupnorm_aot.py:46:40
	v_readlane_b32 s91, v204, 3
.Ltmp31:
	.loc	2 263 15                        ; standard.py:263:15 @[ standard.py:293:36 @[ groupnorm_aot.py:48:17 ] ]
	v_fmac_f32_e32 v1, v63, v63
.Ltmp32:
	.loc	1 46 40                         ; groupnorm_aot.py:46:40
	v_cndmask_b32_e64 v34, 0, v77, s[90:91]
	v_readlane_b32 s90, v204, 4
.Ltmp33:
	.loc	2 263 15                        ; standard.py:263:15 @[ standard.py:293:36 @[ groupnorm_aot.py:48:17 ] ]
	v_fmac_f32_e32 v1, v62, v62
.Ltmp34:
	.loc	1 46 40                         ; groupnorm_aot.py:46:40
	v_readlane_b32 s91, v204, 5
.Ltmp35:
	.loc	2 263 15                        ; standard.py:263:15 @[ standard.py:293:36 @[ groupnorm_aot.py:48:17 ] ]
	v_fmac_f32_e32 v1, v61, v61
.Ltmp36:
	.loc	1 46 40                         ; groupnorm_aot.py:46:40
	v_cndmask_b32_e64 v33, 0, v78, s[90:91]
	v_readlane_b32 s90, v204, 6
.Ltmp37:
	.loc	2 263 15                        ; standard.py:263:15 @[ standard.py:293:36 @[ groupnorm_aot.py:48:17 ] ]
	v_fmac_f32_e32 v1, v60, v60
.Ltmp38:
	.loc	1 46 40                         ; groupnorm_aot.py:46:40
	v_readlane_b32 s91, v204, 7
.Ltmp39:
	.loc	2 263 15                        ; standard.py:263:15 @[ standard.py:293:36 @[ groupnorm_aot.py:48:17 ] ]
	v_fmac_f32_e32 v1, v59, v59
.Ltmp40:
	.loc	1 46 40                         ; groupnorm_aot.py:46:40
	v_cndmask_b32_e64 v32, 0, v79, s[90:91]
	v_readlane_b32 s90, v204, 8
.Ltmp41:
	.loc	2 263 15                        ; standard.py:263:15 @[ standard.py:293:36 @[ groupnorm_aot.py:48:17 ] ]
	v_fmac_f32_e32 v1, v58, v58
.Ltmp42:
	.loc	1 46 40                         ; groupnorm_aot.py:46:40
	v_readlane_b32 s91, v204, 9
.Ltmp43:
	.loc	2 263 15                        ; standard.py:263:15 @[ standard.py:293:36 @[ groupnorm_aot.py:48:17 ] ]
	v_fmac_f32_e32 v1, v57, v57
.Ltmp44:
	.loc	1 46 40                         ; groupnorm_aot.py:46:40
	v_cndmask_b32_e64 v31, 0, v80, s[90:91]
	v_readlane_b32 s90, v204, 10
.Ltmp45:
	.loc	2 263 15                        ; standard.py:263:15 @[ standard.py:293:36 @[ groupnorm_aot.py:48:17 ] ]
	v_fmac_f32_e32 v1, v56, v56
.Ltmp46:
	.loc	1 46 40                         ; groupnorm_aot.py:46:40
	v_readlane_b32 s91, v204, 11
.Ltmp47:
	.loc	2 263 15                        ; standard.py:263:15 @[ standard.py:293:36 @[ groupnorm_aot.py:48:17 ] ]
	v_fmac_f32_e32 v1, v55, v55
.Ltmp48:
	.loc	1 46 40                         ; groupnorm_aot.py:46:40
	v_cndmask_b32_e64 v30, 0, v81, s[90:91]
	v_readlane_b32 s90, v204, 12
.Ltmp49:
	.loc	2 263 15                        ; standard.py:263:15 @[ standard.py:293:36 @[ groupnorm_aot.py:48:17 ] ]
	v_fmac_f32_e32 v1, v54, v54
.Ltmp50:
	.loc	1 46 40                         ; groupnorm_aot.py:46:40
	v_readlane_b32 s91, v204, 13
.Ltmp51:
	.loc	2 263 15                        ; standard.py:263:15 @[ standard.py:293:36 @[ groupnorm_aot.py:48:17 ] ]
	v_fmac_f32_e32 v1, v53, v53
.Ltmp52:
	.loc	1 46 40                         ; groupnorm_aot.py:46:40
	v_cndmask_b32_e64 v29, 0, v82, s[90:91]
	v_readlane_b32 s90, v204, 14
.Ltmp53:
	.loc	2 263 15                        ; standard.py:263:15 @[ standard.py:293:36 @[ groupnorm_aot.py:48:17 ] ]
	v_fmac_f32_e32 v1, v52, v52
.Ltmp54:
	.loc	1 46 40                         ; groupnorm_aot.py:46:40
	v_readlane_b32 s91, v204, 15
.Ltmp55:
	.loc	2 263 15                        ; standard.py:263:15 @[ standard.py:293:36 @[ groupnorm_aot.py:48:17 ] ]
	v_fmac_f32_e32 v1, v51, v51
.Ltmp56:
	.loc	1 46 40                         ; groupnorm_aot.py:46:40
	v_cndmask_b32_e64 v28, 0, v83, s[90:91]
	v_readlane_b32 s90, v204, 16
.Ltmp57:
	.loc	2 263 15                        ; standard.py:263:15 @[ standard.py:293:36 @[ groupnorm_aot.py:48:17 ] ]
	v_fmac_f32_e32 v1, v50, v50
.Ltmp58:
	.loc	1 46 40                         ; groupnorm_aot.py:46:40
	v_readlane_b32 s91, v204, 17
.Ltmp59:
	.loc	2 263 15                        ; standard.py:263:15 @[ standard.py:293:36 @[ groupnorm_aot.py:48:17 ] ]
	v_fmac_f32_e32 v1, v49, v49
.Ltmp60:
	.loc	1 46 40                         ; groupnorm_aot.py:46:40
	v_cndmask_b32_e64 v27, 0, v84, s[90:91]
	v_readlane_b32 s90, v204, 18
.Ltmp61:
	.loc	2 263 15                        ; standard.py:263:15 @[ standard.py:293:36 @[ groupnorm_aot.py:48:17 ] ]
	v_fmac_f32_e32 v1, v48, v48
.Ltmp62:
	.loc	1 46 40                         ; groupnorm_aot.py:46:40
	v_readlane_b32 s91, v204, 19
.Ltmp63:
	.loc	2 263 15                        ; standard.py:263:15 @[ standard.py:293:36 @[ groupnorm_aot.py:48:17 ] ]
	v_fmac_f32_e32 v1, v47, v47
.Ltmp64:
	.loc	1 46 40                         ; groupnorm_aot.py:46:40
	v_cndmask_b32_e64 v26, 0, v85, s[90:91]
	v_readlane_b32 s90, v204, 20
.Ltmp65:
	.loc	2 263 15                        ; standard.py:263:15 @[ standard.py:293:36 @[ groupnorm_aot.py:48:17 ] ]
	v_fmac_f32_e32 v1, v46, v46
.Ltmp66:
	.loc	1 46 40                         ; groupnorm_aot.py:46:40
	v_readlane_b32 s91, v204, 21
.Ltmp67:
	.loc	2 263 15                        ; standard.py:263:15 @[ standard.py:293:36 @[ groupnorm_aot.py:48:17 ] ]
	v_fmac_f32_e32 v1, v45, v45
.Ltmp68:
	.loc	1 46 40                         ; groupnorm_aot.py:46:40
	v_cndmask_b32_e64 v25, 0, v86, s[90:91]
	v_readlane_b32 s90, v204, 22
.Ltmp69:
	.loc	2 263 15                        ; standard.py:263:15 @[ standard.py:293:36 @[ groupnorm_aot.py:48:17 ] ]
	v_fmac_f32_e32 v1, v44, v44
.Ltmp70:
	.loc	1 46 40                         ; groupnorm_aot.py:46:40
	v_readlane_b32 s91, v204, 23
.Ltmp71:
	.loc	2 263 15                        ; standard.py:263:15 @[ standard.py:293:36 @[ groupnorm_aot.py:48:17 ] ]
	v_fmac_f32_e32 v1, v43, v43
.Ltmp72:
	.loc	1 46 40                         ; groupnorm_aot.py:46:40
	v_cndmask_b32_e64 v24, 0, v87, s[90:91]
	v_readlane_b32 s90, v204, 24
.Ltmp73:
	.loc	2 263 15                        ; standard.py:263:15 @[ standard.py:293:36 @[ groupnorm_aot.py:48:17 ] ]
	v_fmac_f32_e32 v1, v42, v42
.Ltmp74:
	.loc	1 46 40                         ; groupnorm_aot.py:46:40
	v_readlane_b32 s91, v204, 25
.Ltmp75:
	.loc	2 263 15                        ; standard.py:263:15 @[ standard.py:293:36 @[ groupnorm_aot.py:48:17 ] ]
	v_fmac_f32_e32 v1, v41, v41
.Ltmp76:
	.loc	1 46 40                         ; groupnorm_aot.py:46:40
	v_cndmask_b32_e64 v23, 0, v88, s[90:91]
	v_readlane_b32 s90, v204, 26
.Ltmp77:
	.loc	2 263 15                        ; standard.py:263:15 @[ standard.py:293:36 @[ groupnorm_aot.py:48:17 ] ]
	v_fmac_f32_e32 v1, v40, v40
.Ltmp78:
	.loc	1 46 40                         ; groupnorm_aot.py:46:40
	v_readlane_b32 s91, v204, 27
.Ltmp79:
	.loc	2 263 15                        ; standard.py:263:15 @[ standard.py:293:36 @[ groupnorm_aot.py:48:17 ] ]
	v_fmac_f32_e32 v1, v39, v39
.Ltmp80:
	.loc	1 46 40                         ; groupnorm_aot.py:46:40
	v_cndmask_b32_e64 v22, 0, v89, s[90:91]
	v_readlane_b32 s90, v204, 28
.Ltmp81:
	.loc	2 263 15                        ; standard.py:263:15 @[ standard.py:293:36 @[ groupnorm_aot.py:48:17 ] ]
	v_fmac_f32_e32 v1, v38, v38
.Ltmp82:
	.loc	1 46 40                         ; groupnorm_aot.py:46:40
	v_readlane_b32 s91, v204, 29
.Ltmp83:
	.loc	2 263 15                        ; standard.py:263:15 @[ standard.py:293:36 @[ groupnorm_aot.py:48:17 ] ]
	v_fmac_f32_e32 v1, v37, v37
.Ltmp84:
	.loc	1 46 40                         ; groupnorm_aot.py:46:40
	v_cndmask_b32_e64 v21, 0, v90, s[90:91]
	v_readlane_b32 s90, v204, 30
.Ltmp85:
	.loc	2 263 15                        ; standard.py:263:15 @[ standard.py:293:36 @[ groupnorm_aot.py:48:17 ] ]
	v_fmac_f32_e32 v1, v36, v36
.Ltmp86:
	.loc	1 46 40                         ; groupnorm_aot.py:46:40
	v_readlane_b32 s91, v204, 31
.Ltmp87:
	.loc	2 263 15                        ; standard.py:263:15 @[ standard.py:293:36 @[ groupnorm_aot.py:48:17 ] ]
	v_fmac_f32_e32 v1, v35, v35
.Ltmp88:
	.loc	1 46 40                         ; groupnorm_aot.py:46:40
	v_cndmask_b32_e64 v20, 0, v91, s[90:91]
	v_readlane_b32 s90, v204, 32
.Ltmp89:
	.loc	2 263 15                        ; standard.py:263:15 @[ standard.py:293:36 @[ groupnorm_aot.py:48:17 ] ]
	v_fmac_f32_e32 v1, v34, v34
.Ltmp90:
	.loc	1 46 40                         ; groupnorm_aot.py:46:40
	v_readlane_b32 s91, v204, 33
.Ltmp91:
	.loc	2 263 15                        ; standard.py:263:15 @[ standard.py:293:36 @[ groupnorm_aot.py:48:17 ] ]
	v_fmac_f32_e32 v1, v33, v33
.Ltmp92:
	.loc	1 46 40                         ; groupnorm_aot.py:46:40
	v_cndmask_b32_e64 v19, 0, v92, s[90:91]
	v_readlane_b32 s90, v204, 34
.Ltmp93:
	.loc	2 263 15                        ; standard.py:263:15 @[ standard.py:293:36 @[ groupnorm_aot.py:48:17 ] ]
	v_fmac_f32_e32 v1, v32, v32
.Ltmp94:
	.loc	1 46 40                         ; groupnorm_aot.py:46:40
	v_readlane_b32 s91, v204, 35
.Ltmp95:
	.loc	2 263 15                        ; standard.py:263:15 @[ standard.py:293:36 @[ groupnorm_aot.py:48:17 ] ]
	v_fmac_f32_e32 v1, v31, v31
.Ltmp96:
	.loc	1 46 40                         ; groupnorm_aot.py:46:40
	v_cndmask_b32_e64 v18, 0, v93, s[90:91]
	v_readlane_b32 s90, v204, 36
.Ltmp97:
	.loc	2 263 15                        ; standard.py:263:15 @[ standard.py:293:36 @[ groupnorm_aot.py:48:17 ] ]
	v_fmac_f32_e32 v1, v30, v30
.Ltmp98:
	.loc	1 46 40                         ; groupnorm_aot.py:46:40
	v_readlane_b32 s91, v204, 37
.Ltmp99:
	.loc	2 263 15                        ; standard.py:263:15 @[ standard.py:293:36 @[ groupnorm_aot.py:48:17 ] ]
	v_fmac_f32_e32 v1, v29, v29
.Ltmp100:
	.loc	1 46 40                         ; groupnorm_aot.py:46:40
	v_cndmask_b32_e64 v17, 0, v94, s[90:91]
	v_readlane_b32 s90, v204, 38
.Ltmp101:
	.loc	2 263 15                        ; standard.py:263:15 @[ standard.py:293:36 @[ groupnorm_aot.py:48:17 ] ]
	v_fmac_f32_e32 v1, v28, v28
.Ltmp102:
	.loc	1 46 40                         ; groupnorm_aot.py:46:40
	v_readlane_b32 s91, v204, 39
.Ltmp103:
	.loc	2 263 15                        ; standard.py:263:15 @[ standard.py:293:36 @[ groupnorm_aot.py:48:17 ] ]
	v_fmac_f32_e32 v1, v27, v27
.Ltmp104:
	.loc	1 46 40                         ; groupnorm_aot.py:46:40
	v_cndmask_b32_e64 v16, 0, v95, s[90:91]
	v_readlane_b32 s90, v204, 40
.Ltmp105:
	.loc	2 263 15                        ; standard.py:263:15 @[ standard.py:293:36 @[ groupnorm_aot.py:48:17 ] ]
	v_fmac_f32_e32 v1, v26, v26
.Ltmp106:
	.loc	1 46 40                         ; groupnorm_aot.py:46:40
	v_readlane_b32 s91, v204, 41
.Ltmp107:
	.loc	2 263 15                        ; standard.py:263:15 @[ standard.py:293:36 @[ groupnorm_aot.py:48:17 ] ]
	v_fmac_f32_e32 v1, v25, v25
.Ltmp108:
	.loc	1 46 40                         ; groupnorm_aot.py:46:40
	v_cndmask_b32_e64 v15, 0, v96, s[90:91]
	v_readlane_b32 s90, v204, 42
.Ltmp109:
	.loc	2 263 15                        ; standard.py:263:15 @[ standard.py:293:36 @[ groupnorm_aot.py:48:17 ] ]
	v_fmac_f32_e32 v1, v24, v24
.Ltmp110:
	.loc	1 46 40                         ; groupnorm_aot.py:46:40
	v_readlane_b32 s91, v204, 43
.Ltmp111:
	.loc	2 263 15                        ; standard.py:263:15 @[ standard.py:293:36 @[ groupnorm_aot.py:48:17 ] ]
	v_fmac_f32_e32 v1, v23, v23
.Ltmp112:
	.loc	1 46 40                         ; groupnorm_aot.py:46:40
	v_cndmask_b32_e64 v14, 0, v97, s[90:91]
	v_readlane_b32 s90, v204, 44
.Ltmp113:
	.loc	2 263 15                        ; standard.py:263:15 @[ standard.py:293:36 @[ groupnorm_aot.py:48:17 ] ]
	v_fmac_f32_e32 v1, v22, v22
.Ltmp114:
	.loc	1 46 40                         ; groupnorm_aot.py:46:40
	v_readlane_b32 s91, v204, 45
.Ltmp115:
	.loc	2 263 15                        ; standard.py:263:15 @[ standard.py:293:36 @[ groupnorm_aot.py:48:17 ] ]
	v_fmac_f32_e32 v1, v21, v21
.Ltmp116:
	.loc	1 46 40                         ; groupnorm_aot.py:46:40
	v_cndmask_b32_e64 v13, 0, v98, s[90:91]
	v_readlane_b32 s90, v204, 46
.Ltmp117:
	.loc	2 263 15                        ; standard.py:263:15 @[ standard.py:293:36 @[ groupnorm_aot.py:48:17 ] ]
	v_fmac_f32_e32 v1, v20, v20
.Ltmp118:
	.loc	1 46 40                         ; groupnorm_aot.py:46:40
	v_readlane_b32 s91, v204, 47
.Ltmp119:
	.loc	2 263 15                        ; standard.py:263:15 @[ standard.py:293:36 @[ groupnorm_aot.py:48:17 ] ]
	v_fmac_f32_e32 v1, v19, v19
.Ltmp120:
	.loc	1 46 40                         ; groupnorm_aot.py:46:40
	v_cndmask_b32_e64 v12, 0, v99, s[90:91]
	v_readlane_b32 s90, v204, 48
.Ltmp121:
	.loc	2 263 15                        ; standard.py:263:15 @[ standard.py:293:36 @[ groupnorm_aot.py:48:17 ] ]
	v_fmac_f32_e32 v1, v18, v18
.Ltmp122:
	.loc	1 46 40                         ; groupnorm_aot.py:46:40
	v_readlane_b32 s91, v204, 49
.Ltmp123:
	.loc	2 263 15                        ; standard.py:263:15 @[ standard.py:293:36 @[ groupnorm_aot.py:48:17 ] ]
	v_fmac_f32_e32 v1, v17, v17
.Ltmp124:
	.loc	1 46 40                         ; groupnorm_aot.py:46:40
	v_cndmask_b32_e64 v11, 0, v100, s[90:91]
	v_readlane_b32 s90, v204, 50
.Ltmp125:
	.loc	2 263 15                        ; standard.py:263:15 @[ standard.py:293:36 @[ groupnorm_aot.py:48:17 ] ]
	v_fmac_f32_e32 v1, v16, v16
.Ltmp126:
	.loc	1 46 40                         ; groupnorm_aot.py:46:40
	v_readlane_b32 s91, v204, 51
.Ltmp127:
	.loc	2 263 15                        ; standard.py:263:15 @[ standard.py:293:36 @[ groupnorm_aot.py:48:17 ] ]
	v_fmac_f32_e32 v1, v15, v15
.Ltmp128:
	.loc	1 46 40                         ; groupnorm_aot.py:46:40
	v_cndmask_b32_e64 v10, 0, v101, s[90:91]
	v_readlane_b32 s90, v204, 52
.Ltmp129:
	.loc	2 263 15                        ; standard.py:263:15 @[ standard.py:293:36 @[ groupnorm_aot.py:48:17 ] ]
	v_fmac_f32_e32 v1, v14, v14
.Ltmp130:
	.loc	1 46 40                         ; groupnorm_aot.py:46:40
	v_readlane_b32 s91, v204, 53
.Ltmp131:
	.loc	2 263 15                        ; standard.py:263:15 @[ standard.py:293:36 @[ groupnorm_aot.py:48:17 ] ]
	v_fmac_f32_e32 v1, v13, v13
.Ltmp132:
	.loc	1 46 40                         ; groupnorm_aot.py:46:40
	v_cndmask_b32_e64 v9, 0, v102, s[90:91]
	v_readlane_b32 s90, v204, 54
.Ltmp133:
	.loc	2 263 15                        ; standard.py:263:15 @[ standard.py:293:36 @[ groupnorm_aot.py:48:17 ] ]
	v_fmac_f32_e32 v1, v12, v12
.Ltmp134:
	.loc	1 46 40                         ; groupnorm_aot.py:46:40
	v_readlane_b32 s91, v204, 55
.Ltmp135:
	.loc	2 263 15                        ; standard.py:263:15 @[ standard.py:293:36 @[ groupnorm_aot.py:48:17 ] ]
	v_fmac_f32_e32 v1, v11, v11
.Ltmp136:
	.loc	1 46 40                         ; groupnorm_aot.py:46:40
	v_cndmask_b32_e64 v8, 0, v103, s[90:91]
	v_readlane_b32 s90, v204, 56
.Ltmp137:
	.loc	2 263 15                        ; standard.py:263:15 @[ standard.py:293:36 @[ groupnorm_aot.py:48:17 ] ]
	v_fmac_f32_e32 v1, v10, v10
.Ltmp138:
	.loc	1 46 40                         ; groupnorm_aot.py:46:40
	v_readlane_b32 s91, v204, 57
.Ltmp139:
	.loc	2 263 15                        ; standard.py:263:15 @[ standard.py:293:36 @[ groupnorm_aot.py:48:17 ] ]
	v_fmac_f32_e32 v1, v9, v9
.Ltmp140:
	.loc	1 46 40                         ; groupnorm_aot.py:46:40
	v_cndmask_b32_e64 v7, 0, v104, s[90:91]
.Ltmp141:
	.loc	2 263 15                        ; standard.py:263:15 @[ standard.py:293:36 @[ groupnorm_aot.py:48:17 ] ]
	v_fmac_f32_e32 v1, v8, v8
	v_fmac_f32_e32 v1, v7, v7
	s_nop 1
	v_add_f32_dpp v1, v1, v1 row_shr:8 row_mask:0xf bank_mask:0xf bound_ctrl:1
	s_nop 1
	v_add_f32_dpp v1, v1, v1 row_shr:4 row_mask:0xf bank_mask:0xf bound_ctrl:1
	;; [unrolled: 2-line block ×4, first 2 shown]
.Ltmp142:
	.loc	2 293 36                        ; standard.py:293:36 @[ groupnorm_aot.py:48:17 ]
	v_mov_b32_e32 v73, v1
	s_nop 1
	v_mov_b32_dpp v73, v73 row_bcast:15 row_mask:0xa bank_mask:0xf bound_ctrl:1
.Ltmp143:
	.loc	2 263 15                        ; standard.py:263:15 @[ standard.py:293:36 @[ groupnorm_aot.py:48:17 ] ]
	v_add_f32_e32 v1, v73, v1
	s_nop 1
	v_add_f32_dpp v1, v1, v1 row_bcast:31 row_mask:0xf bank_mask:0xf bound_ctrl:1
.Ltmp144:
	.loc	2 293 36                        ; standard.py:293:36 @[ groupnorm_aot.py:48:17 ]
	v_readlane_b32 s13, v1, 63
	s_and_saveexec_b64 s[90:91], s[0:1]
; %bb.135:
	v_mov_b32_e32 v1, s13
	ds_write_b32 v72, v1
.Ltmp145:
; %bb.136:
	.loc	2 0 36 is_stmt 0                ; standard.py:0:36
	s_or_b64 exec, exec, s[90:91]
	.loc	1 48 17 is_stmt 1               ; groupnorm_aot.py:48:17
	v_mov_b32_e32 v1, 0
.Ltmp146:
	.loc	2 293 36                        ; standard.py:293:36 @[ groupnorm_aot.py:48:17 ]
	s_waitcnt lgkmcnt(0)
	s_barrier
	s_and_saveexec_b64 s[0:1], s[2:3]
; %bb.137:
	ds_read_b32 v1, v70
; %bb.138:
	.loc	2 0 36 is_stmt 0                ; standard.py:0:36
	s_or_b64 exec, exec, s[0:1]
	.loc	2 293 36                        ; standard.py:293:36 @[ groupnorm_aot.py:48:17 ]
	s_waitcnt lgkmcnt(0)
	v_mov_b32_e32 v72, v1
	s_nop 1
	v_mov_b32_dpp v72, v72 quad_perm:[2,3,0,1] row_mask:0xf bank_mask:0xf
.Ltmp147:
	.loc	2 263 15 is_stmt 1              ; standard.py:263:15 @[ standard.py:293:36 @[ groupnorm_aot.py:48:17 ] ]
	v_add_f32_e32 v1, v1, v72
.Ltmp148:
	.loc	2 293 36                        ; standard.py:293:36 @[ groupnorm_aot.py:48:17 ]
	v_mov_b32_e32 v72, v1
	s_nop 1
	v_mov_b32_dpp v72, v72 quad_perm:[1,0,3,2] row_mask:0xf bank_mask:0xf
	s_and_saveexec_b64 s[0:1], s[88:89]
; %bb.139:
	.loc	2 0 36 is_stmt 0                ; standard.py:0:36
	v_add_f32_e32 v1, v1, v72
	.loc	2 293 36                        ; standard.py:293:36 @[ groupnorm_aot.py:48:17 ]
	ds_write_b32 v70, v1
.Ltmp149:
; %bb.140:
	.loc	2 0 36                          ; standard.py:0:36
	s_or_b64 exec, exec, s[0:1]
	.loc	1 55 29 is_stmt 1               ; groupnorm_aot.py:55:29
	s_ashr_i32 s13, s12, 31
	s_lshl_b64 s[88:89], s[12:13], 2
	v_readlane_b32 s0, v206, 4
.Ltmp150:
	.loc	2 293 36                        ; standard.py:293:36 @[ groupnorm_aot.py:48:17 ]
	v_mov_b32_e32 v126, 0
	v_readlane_b32 s1, v206, 5
.Ltmp151:
	.loc	1 55 29                         ; groupnorm_aot.py:55:29
	s_add_u32 s90, s0, s88
.Ltmp152:
	.loc	2 293 36                        ; standard.py:293:36 @[ groupnorm_aot.py:48:17 ]
	s_waitcnt lgkmcnt(0)
	s_barrier
	ds_read_b32 v1, v126
.Ltmp153:
	.loc	1 55 29                         ; groupnorm_aot.py:55:29
	s_addc_u32 s91, s1, s89
	v_readlane_b32 s0, v206, 12
	v_readlane_b32 s1, v206, 13
	.loc	1 55 25 is_stmt 0               ; groupnorm_aot.py:55:25
	v_cndmask_b32_e64 v70, 0, 1, s[0:1]
	v_cmp_ne_u32_e64 s[2:3], 1, v70
	v_writelane_b32 v206, s2, 4
	s_andn2_b64 vcc, exec, s[0:1]
	v_mov_b32_e32 v134, 0
	v_writelane_b32 v206, s3, 5
	s_cbranch_vccnz .LBB0_142
; %bb.141:
	.loc	1 0 25                          ; groupnorm_aot.py:0:25
	v_mov_b32_e32 v70, 0
	.loc	1 55 25                         ; groupnorm_aot.py:55:25
	global_load_dword v134, v70, s[90:91] offset:-4
.LBB0_142:
	.loc	1 0 25                          ; groupnorm_aot.py:0:25
	v_readlane_b32 s0, v206, 16
	v_readlane_b32 s1, v206, 17
	.loc	1 55 25                         ; groupnorm_aot.py:55:25
	v_cndmask_b32_e64 v70, 0, 1, s[0:1]
	v_cmp_ne_u32_e64 s[2:3], 1, v70
	v_writelane_b32 v206, s2, 12
	s_andn2_b64 vcc, exec, s[0:1]
	v_writelane_b32 v206, s3, 13
	s_cbranch_vccnz .LBB0_144
; %bb.143:
	v_mov_b32_e32 v70, 0
	global_load_dword v126, v70, s[90:91]
.LBB0_144:
	.loc	1 0 25                          ; groupnorm_aot.py:0:25
	v_readlane_b32 s0, v206, 20
	v_readlane_b32 s1, v206, 21
	.loc	1 55 25                         ; groupnorm_aot.py:55:25
	v_cndmask_b32_e64 v70, 0, 1, s[0:1]
	v_cmp_ne_u32_e64 s[2:3], 1, v70
	v_writelane_b32 v206, s2, 16
	v_mov_b32_e32 v129, 0
	s_andn2_b64 vcc, exec, s[0:1]
	v_mov_b32_e32 v133, 0
	v_writelane_b32 v206, s3, 17
	s_cbranch_vccnz .LBB0_146
; %bb.145:
	v_mov_b32_e32 v70, 0
	global_load_dword v133, v70, s[90:91] offset:4
.LBB0_146:
	.loc	1 0 25                          ; groupnorm_aot.py:0:25
	v_readlane_b32 s0, v206, 24
	v_readlane_b32 s1, v206, 25
	.loc	1 55 25                         ; groupnorm_aot.py:55:25
	v_cndmask_b32_e64 v70, 0, 1, s[0:1]
	v_cmp_ne_u32_e64 s[2:3], 1, v70
	v_writelane_b32 v206, s2, 20
	s_andn2_b64 vcc, exec, s[0:1]
	v_writelane_b32 v206, s3, 21
	s_cbranch_vccnz .LBB0_148
; %bb.147:
	v_mov_b32_e32 v70, 0
	global_load_dword v129, v70, s[90:91] offset:8
.LBB0_148:
	.loc	1 0 25                          ; groupnorm_aot.py:0:25
	v_readlane_b32 s0, v206, 28
	v_readlane_b32 s1, v206, 29
	.loc	1 55 25                         ; groupnorm_aot.py:55:25
	v_cndmask_b32_e64 v70, 0, 1, s[0:1]
	v_cmp_ne_u32_e64 s[2:3], 1, v70
	v_writelane_b32 v206, s2, 24
	v_mov_b32_e32 v127, 0
	s_andn2_b64 vcc, exec, s[0:1]
	v_mov_b32_e32 v132, 0
	v_writelane_b32 v206, s3, 25
	s_cbranch_vccnz .LBB0_150
; %bb.149:
	v_mov_b32_e32 v70, 0
	global_load_dword v132, v70, s[90:91] offset:12
.LBB0_150:
	.loc	1 0 25                          ; groupnorm_aot.py:0:25
	v_readlane_b32 s0, v206, 32
	v_readlane_b32 s1, v206, 33
	.loc	1 55 25                         ; groupnorm_aot.py:55:25
	v_cndmask_b32_e64 v70, 0, 1, s[0:1]
	v_cmp_ne_u32_e64 s[2:3], 1, v70
	v_writelane_b32 v206, s2, 28
	s_andn2_b64 vcc, exec, s[0:1]
	v_writelane_b32 v206, s3, 29
	s_cbranch_vccnz .LBB0_152
; %bb.151:
	v_mov_b32_e32 v70, 0
	global_load_dword v127, v70, s[90:91] offset:16
.LBB0_152:
	;; [unrolled: 30-line block ×10, first 2 shown]
	v_cndmask_b32_e64 v70, 0, 1, s[92:93]
	v_cmp_ne_u32_e64 s[0:1], 1, v70
	v_writelane_b32 v205, s0, 32
	v_mov_b32_e32 v110, 0
	s_andn2_b64 vcc, exec, s[92:93]
	v_mov_b32_e32 v114, 0
	v_writelane_b32 v205, s1, 33
	s_cbranch_vccnz .LBB0_186
; %bb.185:
	v_mov_b32_e32 v70, 0
	global_load_dword v114, v70, s[90:91] offset:84
.LBB0_186:
	v_cndmask_b32_e64 v70, 0, 1, s[94:95]
	v_cmp_ne_u32_e64 s[92:93], 1, v70
	s_andn2_b64 vcc, exec, s[94:95]
	s_cbranch_vccnz .LBB0_188
; %bb.187:
	v_mov_b32_e32 v70, 0
	global_load_dword v110, v70, s[90:91] offset:88
.LBB0_188:
	.loc	1 0 25                          ; groupnorm_aot.py:0:25
	v_readlane_b32 s0, v205, 40
	v_readlane_b32 s1, v205, 41
	.loc	1 55 25                         ; groupnorm_aot.py:55:25
	v_cndmask_b32_e64 v70, 0, 1, s[0:1]
	v_cmp_ne_u32_e64 s[94:95], 1, v70
	v_mov_b32_e32 v108, 0
	s_andn2_b64 vcc, exec, s[0:1]
	v_mov_b32_e32 v112, 0
	s_cbranch_vccnz .LBB0_190
; %bb.189:
	v_mov_b32_e32 v70, 0
	global_load_dword v112, v70, s[90:91] offset:92
.LBB0_190:
	v_cndmask_b32_e64 v70, 0, 1, s[14:15]
	v_cmp_ne_u32_e64 s[0:1], 1, v70
	s_andn2_b64 vcc, exec, s[14:15]
	s_cbranch_vccnz .LBB0_192
; %bb.191:
	v_mov_b32_e32 v70, 0
	global_load_dword v108, v70, s[90:91] offset:96
.LBB0_192:
	v_cndmask_b32_e64 v70, 0, 1, s[4:5]
	v_cmp_ne_u32_e64 s[14:15], 1, v70
	v_mov_b32_e32 v106, 0
	s_andn2_b64 vcc, exec, s[4:5]
	v_mov_b32_e32 v109, 0
	s_cbranch_vccnz .LBB0_194
; %bb.193:
	v_mov_b32_e32 v70, 0
	global_load_dword v109, v70, s[90:91] offset:100
.LBB0_194:
	v_cndmask_b32_e64 v70, 0, 1, s[8:9]
	v_cmp_ne_u32_e64 s[4:5], 1, v70
	s_andn2_b64 vcc, exec, s[8:9]
	s_cbranch_vccnz .LBB0_196
; %bb.195:
	v_mov_b32_e32 v70, 0
	global_load_dword v106, v70, s[90:91] offset:104
.LBB0_196:
	;; [unrolled: 18-line block ×20, first 2 shown]
	.loc	1 0 25                          ; groupnorm_aot.py:0:25
	v_readlane_b32 s82, v206, 2
	.loc	1 59 23 is_stmt 1               ; groupnorm_aot.py:59:23
	v_readlane_b32 s84, v206, 4
	v_readlane_b32 s83, v206, 3
	.loc	1 59 27 is_stmt 0               ; groupnorm_aot.py:59:27
	s_add_u32 s82, s82, s88
	.loc	1 59 23                         ; groupnorm_aot.py:59:23
	v_readlane_b32 s85, v206, 5
	.loc	1 59 27                         ; groupnorm_aot.py:59:27
	s_addc_u32 s83, s83, s89
	.loc	1 59 23                         ; groupnorm_aot.py:59:23
	v_mov_b32_e32 v197, 0
	s_and_b64 vcc, exec, s[84:85]
	v_mov_b32_e32 v199, 0
	s_cbranch_vccnz .LBB0_270
; %bb.269:
	.loc	1 0 23                          ; groupnorm_aot.py:0:23
	v_mov_b32_e32 v135, 0
	.loc	1 59 23                         ; groupnorm_aot.py:59:23
	global_load_dword v199, v135, s[82:83] offset:-4
.LBB0_270:
	v_readlane_b32 s84, v206, 12
	v_readlane_b32 s85, v206, 13
	s_and_b64 vcc, exec, s[84:85]
	s_cbranch_vccnz .LBB0_272
; %bb.271:
	v_mov_b32_e32 v135, 0
	global_load_dword v197, v135, s[82:83]
.LBB0_272:
	v_readlane_b32 s84, v206, 16
	v_readlane_b32 s85, v206, 17
	v_mov_b32_e32 v195, 0
	s_and_b64 vcc, exec, s[84:85]
	v_mov_b32_e32 v198, 0
	s_cbranch_vccnz .LBB0_274
; %bb.273:
	v_mov_b32_e32 v135, 0
	global_load_dword v198, v135, s[82:83] offset:4
.LBB0_274:
	v_readlane_b32 s84, v206, 20
	v_readlane_b32 s85, v206, 21
	s_and_b64 vcc, exec, s[84:85]
	s_cbranch_vccnz .LBB0_276
; %bb.275:
	v_mov_b32_e32 v135, 0
	global_load_dword v195, v135, s[82:83] offset:8
.LBB0_276:
	v_readlane_b32 s84, v206, 24
	v_readlane_b32 s85, v206, 25
	v_mov_b32_e32 v193, 0
	s_and_b64 vcc, exec, s[84:85]
	v_mov_b32_e32 v196, 0
	s_cbranch_vccnz .LBB0_278
; %bb.277:
	v_mov_b32_e32 v135, 0
	global_load_dword v196, v135, s[82:83] offset:12
.LBB0_278:
	v_readlane_b32 s84, v206, 28
	v_readlane_b32 s85, v206, 29
	s_and_b64 vcc, exec, s[84:85]
	s_cbranch_vccnz .LBB0_280
; %bb.279:
	v_mov_b32_e32 v135, 0
	global_load_dword v193, v135, s[82:83] offset:16
.LBB0_280:
	;; [unrolled: 18-line block ×10, first 2 shown]
	v_readlane_b32 s84, v205, 32
	v_readlane_b32 s85, v205, 33
	v_mov_b32_e32 v175, 0
	s_and_b64 vcc, exec, s[84:85]
	v_mov_b32_e32 v178, 0
	s_cbranch_vccz .LBB0_487
; %bb.313:
	s_and_b64 vcc, exec, s[92:93]
	s_cbranch_vccz .LBB0_488
.LBB0_314:
	v_mov_b32_e32 v173, 0
	s_and_b64 vcc, exec, s[94:95]
	v_mov_b32_e32 v176, 0
	s_cbranch_vccz .LBB0_489
.LBB0_315:
	s_and_b64 vcc, exec, s[0:1]
	s_cbranch_vccz .LBB0_490
.LBB0_316:
	v_mov_b32_e32 v171, 0
	s_and_b64 vcc, exec, s[14:15]
	v_mov_b32_e32 v174, 0
	s_cbranch_vccz .LBB0_491
.LBB0_317:
	s_and_b64 vcc, exec, s[4:5]
	s_cbranch_vccz .LBB0_492
.LBB0_318:
	v_mov_b32_e32 v169, 0
	s_and_b64 vcc, exec, s[8:9]
	v_mov_b32_e32 v172, 0
	s_cbranch_vccz .LBB0_493
.LBB0_319:
	s_and_b64 vcc, exec, s[2:3]
	s_cbranch_vccz .LBB0_494
.LBB0_320:
	v_mov_b32_e32 v167, 0
	s_and_b64 vcc, exec, s[6:7]
	v_mov_b32_e32 v170, 0
	s_cbranch_vccnz .LBB0_322
.LBB0_321:
	v_mov_b32_e32 v135, 0
	global_load_dword v170, v135, s[82:83] offset:116
.LBB0_322:
	.loc	1 0 23                          ; groupnorm_aot.py:0:23
	v_readlane_b32 s4, v206, 8
	.loc	1 59 23                         ; groupnorm_aot.py:59:23
	s_and_b64 vcc, exec, s[46:47]
	v_readlane_b32 s5, v206, 9
	s_cbranch_vccz .LBB0_495
; %bb.323:
	v_mov_b32_e32 v165, 0
	s_and_b64 vcc, exec, s[12:13]
	v_mov_b32_e32 v168, 0
	s_cbranch_vccz .LBB0_496
.LBB0_324:
	s_and_b64 vcc, exec, s[18:19]
	s_cbranch_vccz .LBB0_497
.LBB0_325:
	v_mov_b32_e32 v163, 0
	s_and_b64 vcc, exec, s[20:21]
	v_mov_b32_e32 v166, 0
	s_cbranch_vccz .LBB0_498
.LBB0_326:
	s_and_b64 vcc, exec, s[22:23]
	s_cbranch_vccz .LBB0_499
.LBB0_327:
	v_mov_b32_e32 v161, 0
	s_and_b64 vcc, exec, s[24:25]
	v_mov_b32_e32 v164, 0
	s_cbranch_vccz .LBB0_500
.LBB0_328:
	s_and_b64 vcc, exec, s[26:27]
	s_cbranch_vccz .LBB0_501
.LBB0_329:
	v_mov_b32_e32 v159, 0
	s_and_b64 vcc, exec, s[28:29]
	v_mov_b32_e32 v162, 0
	s_cbranch_vccz .LBB0_502
.LBB0_330:
	s_and_b64 vcc, exec, s[30:31]
	s_cbranch_vccz .LBB0_503
.LBB0_331:
	v_mov_b32_e32 v157, 0
	s_and_b64 vcc, exec, s[34:35]
	v_mov_b32_e32 v160, 0
	s_cbranch_vccz .LBB0_504
.LBB0_332:
	s_and_b64 vcc, exec, s[36:37]
	s_cbranch_vccz .LBB0_505
.LBB0_333:
	v_mov_b32_e32 v155, 0
	s_and_b64 vcc, exec, s[38:39]
	v_mov_b32_e32 v158, 0
	s_cbranch_vccz .LBB0_506
.LBB0_334:
	s_and_b64 vcc, exec, s[40:41]
	s_cbranch_vccz .LBB0_507
.LBB0_335:
	v_mov_b32_e32 v153, 0
	s_and_b64 vcc, exec, s[42:43]
	v_mov_b32_e32 v156, 0
	s_cbranch_vccz .LBB0_508
.LBB0_336:
	s_and_b64 vcc, exec, s[44:45]
	s_cbranch_vccz .LBB0_509
.LBB0_337:
	v_mov_b32_e32 v151, 0
	s_and_b64 vcc, exec, s[10:11]
	v_mov_b32_e32 v154, 0
	s_cbranch_vccz .LBB0_510
.LBB0_338:
	s_and_b64 vcc, exec, s[16:17]
	s_cbranch_vccz .LBB0_511
.LBB0_339:
	v_mov_b32_e32 v149, 0
	s_and_b64 vcc, exec, s[48:49]
	v_mov_b32_e32 v152, 0
	s_cbranch_vccz .LBB0_512
.LBB0_340:
	s_and_b64 vcc, exec, s[50:51]
	s_cbranch_vccz .LBB0_513
.LBB0_341:
	v_mov_b32_e32 v147, 0
	s_and_b64 vcc, exec, s[52:53]
	v_mov_b32_e32 v150, 0
	s_cbranch_vccz .LBB0_514
.LBB0_342:
	s_and_b64 vcc, exec, s[54:55]
	s_cbranch_vccz .LBB0_515
.LBB0_343:
	v_mov_b32_e32 v145, 0
	s_and_b64 vcc, exec, s[56:57]
	v_mov_b32_e32 v148, 0
	s_cbranch_vccz .LBB0_516
.LBB0_344:
	s_and_b64 vcc, exec, s[58:59]
	s_cbranch_vccz .LBB0_517
.LBB0_345:
	v_mov_b32_e32 v143, 0
	s_and_b64 vcc, exec, s[60:61]
	v_mov_b32_e32 v146, 0
	s_cbranch_vccz .LBB0_518
.LBB0_346:
	s_and_b64 vcc, exec, s[62:63]
	s_cbranch_vccz .LBB0_519
.LBB0_347:
	v_mov_b32_e32 v141, 0
	s_and_b64 vcc, exec, s[64:65]
	v_mov_b32_e32 v144, 0
	s_cbranch_vccz .LBB0_520
.LBB0_348:
	s_and_b64 vcc, exec, s[66:67]
	s_cbranch_vccz .LBB0_521
.LBB0_349:
	v_mov_b32_e32 v139, 0
	s_and_b64 vcc, exec, s[68:69]
	v_mov_b32_e32 v142, 0
	s_cbranch_vccz .LBB0_522
.LBB0_350:
	s_and_b64 vcc, exec, s[70:71]
	s_cbranch_vccz .LBB0_523
.LBB0_351:
	v_mov_b32_e32 v137, 0
	s_and_b64 vcc, exec, s[72:73]
	v_mov_b32_e32 v140, 0
	s_cbranch_vccz .LBB0_524
.LBB0_352:
	s_and_b64 vcc, exec, s[74:75]
	s_cbranch_vccz .LBB0_525
.LBB0_353:
	v_mov_b32_e32 v135, 0
	s_and_b64 vcc, exec, s[76:77]
	v_mov_b32_e32 v138, 0
	s_cbranch_vccz .LBB0_526
.LBB0_354:
	.loc	1 0 23                          ; groupnorm_aot.py:0:23
	s_load_dword s0, s[4:5], 0x40
	.loc	1 59 23                         ; groupnorm_aot.py:59:23
	s_and_b64 vcc, exec, s[78:79]
	s_cbranch_vccnz .LBB0_356
.LBB0_355:
	v_mov_b32_e32 v135, 0
	global_load_dword v135, v135, s[82:83] offset:248
.LBB0_356:
	.loc	1 48 26 is_stmt 1               ; groupnorm_aot.py:48:26
	s_waitcnt lgkmcnt(0)
	v_div_scale_f32 v136, s[2:3], v0, v0, v1
	v_rcp_f32_e32 v200, v136
	v_div_scale_f32 v201, vcc, v1, v0, v1
	v_fma_f32 v202, -v136, v200, 1.0
	v_fmac_f32_e32 v200, v202, v200
	v_mul_f32_e32 v202, v201, v200
	v_fma_f32 v203, -v136, v202, v201
	v_fmac_f32_e32 v202, v203, v200
	v_fma_f32 v136, -v136, v202, v201
	v_div_fmas_f32 v136, v136, v200, v202
	v_div_fixup_f32 v0, v136, v0, v1
	.loc	1 49 23                         ; groupnorm_aot.py:49:23
	v_add_f32_e32 v0, s0, v0
	s_mov_b32 s0, 0x800000
	.loc	1 49 17 is_stmt 0               ; groupnorm_aot.py:49:17
	v_mul_f32_e32 v1, 0x4b800000, v0
	v_cmp_gt_f32_e32 vcc, s0, v0
	v_cndmask_b32_e32 v0, v0, v1, vcc
	v_rsq_f32_e32 v0, v0
	v_readlane_b32 s0, v206, 6
	v_readlane_b32 s1, v206, 7
	v_mul_f32_e32 v1, 0x45800000, v0
	v_cndmask_b32_e32 v136, v0, v1, vcc
	.loc	1 42 16 is_stmt 1               ; groupnorm_aot.py:42:16
	v_mov_b32_e32 v1, s1
	v_add_co_u32_e32 v0, vcc, s0, v2
	v_addc_co_u32_e32 v1, vcc, v1, v3, vcc
	.loc	1 62 20                         ; groupnorm_aot.py:62:20
	s_mov_b64 s[0:1], exec
	v_readlane_b32 s2, v206, 14
	v_readlane_b32 s3, v206, 15
	s_and_b64 s[2:3], s[0:1], s[2:3]
	s_mov_b64 exec, s[2:3]
	s_cbranch_execz .LBB0_358
; %bb.357:
	.loc	1 50 16                         ; groupnorm_aot.py:50:16
	v_mul_f32_e32 v2, v71, v136
	s_waitcnt vmcnt(0)
	v_fmac_f32_e32 v199, v2, v134
	.loc	1 62 20                         ; groupnorm_aot.py:62:20
	global_store_dword v[0:1], v199, off
.LBB0_358:
	.loc	1 0 20 is_stmt 0                ; groupnorm_aot.py:0:20
	s_or_b64 exec, exec, s[0:1]
	.loc	1 42 16 is_stmt 1               ; groupnorm_aot.py:42:16
	v_mov_b32_e32 v2, s81
	v_add_co_u32_e32 v0, vcc, s80, v0
	v_addc_co_u32_e32 v1, vcc, v1, v2, vcc
	.loc	1 62 20                         ; groupnorm_aot.py:62:20
	s_mov_b64 s[0:1], exec
	v_readlane_b32 s2, v206, 18
	v_readlane_b32 s3, v206, 19
	s_and_b64 s[2:3], s[0:1], s[2:3]
	s_mov_b64 exec, s[2:3]
	s_cbranch_execz .LBB0_360
; %bb.359:
	.loc	1 50 16                         ; groupnorm_aot.py:50:16
	v_mul_f32_e32 v2, v69, v136
	.loc	1 60 29                         ; groupnorm_aot.py:60:29
	s_waitcnt vmcnt(0)
	v_fmac_f32_e32 v197, v2, v126
	.loc	1 62 20                         ; groupnorm_aot.py:62:20
	global_store_dword v[0:1], v197, off
.LBB0_360:
	.loc	1 0 20 is_stmt 0                ; groupnorm_aot.py:0:20
	s_or_b64 exec, exec, s[0:1]
	.loc	1 42 16 is_stmt 1               ; groupnorm_aot.py:42:16
	v_mov_b32_e32 v2, s81
	v_add_co_u32_e32 v0, vcc, s80, v0
	v_addc_co_u32_e32 v1, vcc, v1, v2, vcc
	.loc	1 62 20                         ; groupnorm_aot.py:62:20
	s_mov_b64 s[0:1], exec
	v_readlane_b32 s2, v206, 22
	v_readlane_b32 s3, v206, 23
	s_and_b64 s[2:3], s[0:1], s[2:3]
	s_mov_b64 exec, s[2:3]
	s_cbranch_execz .LBB0_362
; %bb.361:
	.loc	1 50 16                         ; groupnorm_aot.py:50:16
	v_mul_f32_e32 v2, v68, v136
	.loc	1 60 29                         ; groupnorm_aot.py:60:29
	s_waitcnt vmcnt(0)
	v_fmac_f32_e32 v198, v2, v133
	.loc	1 62 20                         ; groupnorm_aot.py:62:20
	global_store_dword v[0:1], v198, off
.LBB0_362:
	;; [unrolled: 22-line block ×62, first 2 shown]
	.loc	1 0 20 is_stmt 0                ; groupnorm_aot.py:0:20
	s_or_b64 exec, exec, s[0:1]
	.loc	1 62 20                         ; groupnorm_aot.py:62:20
	s_mov_b64 s[0:1], exec
	v_readlane_b32 s2, v204, 56
	v_readlane_b32 s3, v204, 57
	s_and_b64 s[2:3], s[0:1], s[2:3]
	s_mov_b64 exec, s[2:3]
	s_cbranch_execz .LBB0_484
; %bb.483:
	.loc	1 50 16 is_stmt 1               ; groupnorm_aot.py:50:16
	v_mul_f32_e32 v2, v7, v136
	.loc	1 60 29                         ; groupnorm_aot.py:60:29
	s_waitcnt vmcnt(0)
	v_fmac_f32_e32 v135, v2, v70
	.loc	1 42 16                         ; groupnorm_aot.py:42:16
	v_mov_b32_e32 v2, s81
	v_add_co_u32_e32 v0, vcc, s80, v0
	v_addc_co_u32_e32 v1, vcc, v1, v2, vcc
	.loc	1 62 20                         ; groupnorm_aot.py:62:20
	global_store_dword v[0:1], v135, off
.LBB0_484:
	.loc	1 0 20 is_stmt 0                ; groupnorm_aot.py:0:20
	s_or_b64 exec, exec, s[0:1]
	.loc	1 63 23 is_stmt 1               ; groupnorm_aot.py:63:23
	v_or_b32_e32 v0, v4, v5
	v_cmp_eq_u32_e32 vcc, 0, v0
	s_and_saveexec_b64 s[0:1], vcc
	s_cbranch_execz .LBB0_486
; %bb.485:
	.loc	1 0 23 is_stmt 0                ; groupnorm_aot.py:0:23
	s_load_dwordx2 s[0:1], s[4:5], 0x28
	.loc	1 38 22 is_stmt 1               ; groupnorm_aot.py:38:22
	v_readlane_b32 s2, v206, 10
	v_readlane_b32 s3, v206, 11
	s_lshl_b64 s[2:3], s[2:3], 2
	v_readlane_b32 s4, v206, 0
	v_readlane_b32 s5, v206, 1
	s_add_u32 s4, s4, s2
	s_addc_u32 s5, s5, s3
	v_mov_b32_e32 v0, 0
	.loc	1 39 22                         ; groupnorm_aot.py:39:22
	s_waitcnt lgkmcnt(0)
	s_add_u32 s0, s0, s2
	s_addc_u32 s1, s1, s3
	.loc	1 63 23                         ; groupnorm_aot.py:63:23
	global_store_dword v0, v6, s[4:5]
	.loc	1 64 23                         ; groupnorm_aot.py:64:23
	global_store_dword v0, v136, s[0:1]
.LBB0_486:                              ; %.critedge
	.loc	1 64 4                          ; groupnorm_aot.py:64:4
	s_endpgm
.LBB0_487:
	.loc	1 59 23                         ; groupnorm_aot.py:59:23
	v_mov_b32_e32 v135, 0
	global_load_dword v178, v135, s[82:83] offset:84
	s_and_b64 vcc, exec, s[92:93]
	s_cbranch_vccnz .LBB0_314
.LBB0_488:
	v_mov_b32_e32 v135, 0
	global_load_dword v175, v135, s[82:83] offset:88
	v_mov_b32_e32 v173, 0
	s_and_b64 vcc, exec, s[94:95]
	v_mov_b32_e32 v176, 0
	s_cbranch_vccnz .LBB0_315
.LBB0_489:
	v_mov_b32_e32 v135, 0
	global_load_dword v176, v135, s[82:83] offset:92
	s_and_b64 vcc, exec, s[0:1]
	s_cbranch_vccnz .LBB0_316
.LBB0_490:
	v_mov_b32_e32 v135, 0
	global_load_dword v173, v135, s[82:83] offset:96
	v_mov_b32_e32 v171, 0
	s_and_b64 vcc, exec, s[14:15]
	v_mov_b32_e32 v174, 0
	s_cbranch_vccnz .LBB0_317
.LBB0_491:
	v_mov_b32_e32 v135, 0
	global_load_dword v174, v135, s[82:83] offset:100
	s_and_b64 vcc, exec, s[4:5]
	s_cbranch_vccnz .LBB0_318
.LBB0_492:
	v_mov_b32_e32 v135, 0
	global_load_dword v171, v135, s[82:83] offset:104
	v_mov_b32_e32 v169, 0
	s_and_b64 vcc, exec, s[8:9]
	v_mov_b32_e32 v172, 0
	s_cbranch_vccnz .LBB0_319
.LBB0_493:
	v_mov_b32_e32 v135, 0
	global_load_dword v172, v135, s[82:83] offset:108
	s_and_b64 vcc, exec, s[2:3]
	s_cbranch_vccnz .LBB0_320
.LBB0_494:
	v_mov_b32_e32 v135, 0
	global_load_dword v169, v135, s[82:83] offset:112
	v_mov_b32_e32 v167, 0
	s_and_b64 vcc, exec, s[6:7]
	v_mov_b32_e32 v170, 0
	s_cbranch_vccz .LBB0_321
	s_branch .LBB0_322
.LBB0_495:
	v_mov_b32_e32 v135, 0
	global_load_dword v167, v135, s[82:83] offset:120
	v_mov_b32_e32 v165, 0
	s_and_b64 vcc, exec, s[12:13]
	v_mov_b32_e32 v168, 0
	s_cbranch_vccnz .LBB0_324
.LBB0_496:
	v_mov_b32_e32 v135, 0
	global_load_dword v168, v135, s[82:83] offset:124
	s_and_b64 vcc, exec, s[18:19]
	s_cbranch_vccnz .LBB0_325
.LBB0_497:
	v_mov_b32_e32 v135, 0
	global_load_dword v165, v135, s[82:83] offset:128
	v_mov_b32_e32 v163, 0
	s_and_b64 vcc, exec, s[20:21]
	v_mov_b32_e32 v166, 0
	s_cbranch_vccnz .LBB0_326
.LBB0_498:
	v_mov_b32_e32 v135, 0
	global_load_dword v166, v135, s[82:83] offset:132
	s_and_b64 vcc, exec, s[22:23]
	s_cbranch_vccnz .LBB0_327
.LBB0_499:
	v_mov_b32_e32 v135, 0
	global_load_dword v163, v135, s[82:83] offset:136
	v_mov_b32_e32 v161, 0
	s_and_b64 vcc, exec, s[24:25]
	v_mov_b32_e32 v164, 0
	s_cbranch_vccnz .LBB0_328
.LBB0_500:
	v_mov_b32_e32 v135, 0
	global_load_dword v164, v135, s[82:83] offset:140
	s_and_b64 vcc, exec, s[26:27]
	s_cbranch_vccnz .LBB0_329
.LBB0_501:
	v_mov_b32_e32 v135, 0
	global_load_dword v161, v135, s[82:83] offset:144
	v_mov_b32_e32 v159, 0
	s_and_b64 vcc, exec, s[28:29]
	v_mov_b32_e32 v162, 0
	s_cbranch_vccnz .LBB0_330
.LBB0_502:
	v_mov_b32_e32 v135, 0
	global_load_dword v162, v135, s[82:83] offset:148
	s_and_b64 vcc, exec, s[30:31]
	s_cbranch_vccnz .LBB0_331
.LBB0_503:
	v_mov_b32_e32 v135, 0
	global_load_dword v159, v135, s[82:83] offset:152
	v_mov_b32_e32 v157, 0
	s_and_b64 vcc, exec, s[34:35]
	v_mov_b32_e32 v160, 0
	s_cbranch_vccnz .LBB0_332
.LBB0_504:
	v_mov_b32_e32 v135, 0
	global_load_dword v160, v135, s[82:83] offset:156
	s_and_b64 vcc, exec, s[36:37]
	s_cbranch_vccnz .LBB0_333
.LBB0_505:
	v_mov_b32_e32 v135, 0
	global_load_dword v157, v135, s[82:83] offset:160
	v_mov_b32_e32 v155, 0
	s_and_b64 vcc, exec, s[38:39]
	v_mov_b32_e32 v158, 0
	s_cbranch_vccnz .LBB0_334
.LBB0_506:
	v_mov_b32_e32 v135, 0
	global_load_dword v158, v135, s[82:83] offset:164
	s_and_b64 vcc, exec, s[40:41]
	s_cbranch_vccnz .LBB0_335
.LBB0_507:
	v_mov_b32_e32 v135, 0
	global_load_dword v155, v135, s[82:83] offset:168
	v_mov_b32_e32 v153, 0
	s_and_b64 vcc, exec, s[42:43]
	v_mov_b32_e32 v156, 0
	s_cbranch_vccnz .LBB0_336
.LBB0_508:
	v_mov_b32_e32 v135, 0
	global_load_dword v156, v135, s[82:83] offset:172
	s_and_b64 vcc, exec, s[44:45]
	s_cbranch_vccnz .LBB0_337
.LBB0_509:
	v_mov_b32_e32 v135, 0
	global_load_dword v153, v135, s[82:83] offset:176
	v_mov_b32_e32 v151, 0
	s_and_b64 vcc, exec, s[10:11]
	v_mov_b32_e32 v154, 0
	s_cbranch_vccnz .LBB0_338
.LBB0_510:
	v_mov_b32_e32 v135, 0
	global_load_dword v154, v135, s[82:83] offset:180
	s_and_b64 vcc, exec, s[16:17]
	s_cbranch_vccnz .LBB0_339
.LBB0_511:
	v_mov_b32_e32 v135, 0
	global_load_dword v151, v135, s[82:83] offset:184
	v_mov_b32_e32 v149, 0
	s_and_b64 vcc, exec, s[48:49]
	v_mov_b32_e32 v152, 0
	s_cbranch_vccnz .LBB0_340
.LBB0_512:
	v_mov_b32_e32 v135, 0
	global_load_dword v152, v135, s[82:83] offset:188
	s_and_b64 vcc, exec, s[50:51]
	s_cbranch_vccnz .LBB0_341
.LBB0_513:
	v_mov_b32_e32 v135, 0
	global_load_dword v149, v135, s[82:83] offset:192
	v_mov_b32_e32 v147, 0
	s_and_b64 vcc, exec, s[52:53]
	v_mov_b32_e32 v150, 0
	s_cbranch_vccnz .LBB0_342
.LBB0_514:
	v_mov_b32_e32 v135, 0
	global_load_dword v150, v135, s[82:83] offset:196
	s_and_b64 vcc, exec, s[54:55]
	s_cbranch_vccnz .LBB0_343
.LBB0_515:
	v_mov_b32_e32 v135, 0
	global_load_dword v147, v135, s[82:83] offset:200
	v_mov_b32_e32 v145, 0
	s_and_b64 vcc, exec, s[56:57]
	v_mov_b32_e32 v148, 0
	s_cbranch_vccnz .LBB0_344
.LBB0_516:
	v_mov_b32_e32 v135, 0
	global_load_dword v148, v135, s[82:83] offset:204
	s_and_b64 vcc, exec, s[58:59]
	s_cbranch_vccnz .LBB0_345
.LBB0_517:
	v_mov_b32_e32 v135, 0
	global_load_dword v145, v135, s[82:83] offset:208
	v_mov_b32_e32 v143, 0
	s_and_b64 vcc, exec, s[60:61]
	v_mov_b32_e32 v146, 0
	s_cbranch_vccnz .LBB0_346
.LBB0_518:
	v_mov_b32_e32 v135, 0
	global_load_dword v146, v135, s[82:83] offset:212
	s_and_b64 vcc, exec, s[62:63]
	s_cbranch_vccnz .LBB0_347
.LBB0_519:
	v_mov_b32_e32 v135, 0
	global_load_dword v143, v135, s[82:83] offset:216
	v_mov_b32_e32 v141, 0
	s_and_b64 vcc, exec, s[64:65]
	v_mov_b32_e32 v144, 0
	s_cbranch_vccnz .LBB0_348
.LBB0_520:
	v_mov_b32_e32 v135, 0
	global_load_dword v144, v135, s[82:83] offset:220
	s_and_b64 vcc, exec, s[66:67]
	s_cbranch_vccnz .LBB0_349
.LBB0_521:
	v_mov_b32_e32 v135, 0
	global_load_dword v141, v135, s[82:83] offset:224
	v_mov_b32_e32 v139, 0
	s_and_b64 vcc, exec, s[68:69]
	v_mov_b32_e32 v142, 0
	s_cbranch_vccnz .LBB0_350
.LBB0_522:
	v_mov_b32_e32 v135, 0
	global_load_dword v142, v135, s[82:83] offset:228
	s_and_b64 vcc, exec, s[70:71]
	s_cbranch_vccnz .LBB0_351
.LBB0_523:
	v_mov_b32_e32 v135, 0
	global_load_dword v139, v135, s[82:83] offset:232
	v_mov_b32_e32 v137, 0
	s_and_b64 vcc, exec, s[72:73]
	v_mov_b32_e32 v140, 0
	s_cbranch_vccnz .LBB0_352
.LBB0_524:
	v_mov_b32_e32 v135, 0
	global_load_dword v140, v135, s[82:83] offset:236
	s_and_b64 vcc, exec, s[74:75]
	s_cbranch_vccnz .LBB0_353
.LBB0_525:
	v_mov_b32_e32 v135, 0
	global_load_dword v137, v135, s[82:83] offset:240
	v_mov_b32_e32 v135, 0
	s_and_b64 vcc, exec, s[76:77]
	v_mov_b32_e32 v138, 0
	s_cbranch_vccnz .LBB0_354
.LBB0_526:
	v_mov_b32_e32 v136, 0
	global_load_dword v138, v136, s[82:83] offset:244
	s_load_dword s0, s[4:5], 0x40
	s_and_b64 vcc, exec, s[78:79]
	s_cbranch_vccz .LBB0_355
	s_branch .LBB0_356
.Ltmp154:
	.section	.rodata,"a",@progbits
	.p2align	6, 0x0
	.amdhsa_kernel group_norm_kernel
		.amdhsa_group_segment_fixed_size 0
		.amdhsa_private_segment_fixed_size 0
		.amdhsa_kernarg_size 88
		.amdhsa_user_sgpr_count 16
		.amdhsa_user_sgpr_private_segment_buffer 1
		.amdhsa_user_sgpr_dispatch_ptr 0
		.amdhsa_user_sgpr_queue_ptr 0
		.amdhsa_user_sgpr_kernarg_segment_ptr 1
		.amdhsa_user_sgpr_dispatch_id 0
		.amdhsa_user_sgpr_flat_scratch_init 0
		.amdhsa_user_sgpr_kernarg_preload_length 10
		.amdhsa_user_sgpr_kernarg_preload_offset 0
		.amdhsa_user_sgpr_private_segment_size 0
		.amdhsa_uses_dynamic_stack 0
		.amdhsa_system_sgpr_private_segment_wavefront_offset 0
		.amdhsa_system_sgpr_workgroup_id_x 1
		.amdhsa_system_sgpr_workgroup_id_y 0
		.amdhsa_system_sgpr_workgroup_id_z 0
		.amdhsa_system_sgpr_workgroup_info 0
		.amdhsa_system_vgpr_workitem_id 0
		.amdhsa_next_free_vgpr 207
		.amdhsa_next_free_sgpr 96
		.amdhsa_accum_offset 208
		.amdhsa_reserve_vcc 1
		.amdhsa_reserve_flat_scratch 0
		.amdhsa_reserve_xnack_mask 1
		.amdhsa_float_round_mode_32 0
		.amdhsa_float_round_mode_16_64 0
		.amdhsa_float_denorm_mode_32 3
		.amdhsa_float_denorm_mode_16_64 3
		.amdhsa_dx10_clamp 1
		.amdhsa_ieee_mode 1
		.amdhsa_fp16_overflow 0
		.amdhsa_tg_split 0
		.amdhsa_exception_fp_ieee_invalid_op 0
		.amdhsa_exception_fp_denorm_src 0
		.amdhsa_exception_fp_ieee_div_zero 0
		.amdhsa_exception_fp_ieee_overflow 0
		.amdhsa_exception_fp_ieee_underflow 0
		.amdhsa_exception_fp_ieee_inexact 0
		.amdhsa_exception_int_div_zero 0
	.end_amdhsa_kernel
	.text
.Lfunc_end0:
	.size	group_norm_kernel, .Lfunc_end0-group_norm_kernel
	.cfi_endproc
                                        ; -- End function
	.set group_norm_kernel.num_vgpr, 207
	.set group_norm_kernel.num_agpr, 0
	.set group_norm_kernel.numbered_sgpr, 96
	.set group_norm_kernel.num_named_barrier, 0
	.set group_norm_kernel.private_seg_size, 0
	.set group_norm_kernel.uses_vcc, 1
	.set group_norm_kernel.uses_flat_scratch, 0
	.set group_norm_kernel.has_dyn_sized_stack, 0
	.set group_norm_kernel.has_recursion, 0
	.set group_norm_kernel.has_indirect_call, 0
	.section	.AMDGPU.csdata,"",@progbits
; Kernel info:
; codeLenInByte = 19472
; TotalNumSgprs: 100
; NumVgprs: 207
; NumAgprs: 0
; TotalNumVgprs: 207
; ScratchSize: 0
; MemoryBound: 0
; FloatMode: 240
; IeeeMode: 1
; LDSByteSize: 0 bytes/workgroup (compile time only)
; SGPRBlocks: 12
; VGPRBlocks: 25
; NumSGPRsForWavesPerEU: 100
; NumVGPRsForWavesPerEU: 207
; AccumOffset: 208
; Occupancy: 2
; WaveLimiterHint : 0
; COMPUTE_PGM_RSRC2:SCRATCH_EN: 0
; COMPUTE_PGM_RSRC2:USER_SGPR: 16
; COMPUTE_PGM_RSRC2:TRAP_HANDLER: 0
; COMPUTE_PGM_RSRC2:TGID_X_EN: 1
; COMPUTE_PGM_RSRC2:TGID_Y_EN: 0
; COMPUTE_PGM_RSRC2:TGID_Z_EN: 0
; COMPUTE_PGM_RSRC2:TIDIG_COMP_CNT: 0
; COMPUTE_PGM_RSRC3_GFX90A:ACCUM_OFFSET: 51
; COMPUTE_PGM_RSRC3_GFX90A:TG_SPLIT: 0
	.text
	.p2alignl 6, 3212836864
	.fill 256, 4, 3212836864
	.section	.AMDGPU.gpr_maximums,"",@progbits
	.set amdgpu.max_num_vgpr, 0
	.set amdgpu.max_num_agpr, 0
	.set amdgpu.max_num_sgpr, 0
	.set amdgpu.max_num_named_barrier, 0
	.text
	.section	.debug_abbrev,"",@progbits
	.byte	1                               ; Abbreviation Code
	.byte	17                              ; DW_TAG_compile_unit
	.byte	1                               ; DW_CHILDREN_yes
	.byte	37                              ; DW_AT_producer
	.byte	14                              ; DW_FORM_strp
	.byte	19                              ; DW_AT_language
	.byte	5                               ; DW_FORM_data2
	.byte	3                               ; DW_AT_name
	.byte	14                              ; DW_FORM_strp
	.byte	16                              ; DW_AT_stmt_list
	.byte	23                              ; DW_FORM_sec_offset
	.byte	27                              ; DW_AT_comp_dir
	.byte	14                              ; DW_FORM_strp
	.byte	17                              ; DW_AT_low_pc
	.byte	1                               ; DW_FORM_addr
	.byte	18                              ; DW_AT_high_pc
	.byte	6                               ; DW_FORM_data4
	.byte	0                               ; EOM(1)
	.byte	0                               ; EOM(2)
	.byte	2                               ; Abbreviation Code
	.byte	46                              ; DW_TAG_subprogram
	.byte	0                               ; DW_CHILDREN_no
	.byte	3                               ; DW_AT_name
	.byte	14                              ; DW_FORM_strp
	.byte	32                              ; DW_AT_inline
	.byte	11                              ; DW_FORM_data1
	.byte	0                               ; EOM(1)
	.byte	0                               ; EOM(2)
	.byte	3                               ; Abbreviation Code
	.byte	46                              ; DW_TAG_subprogram
	.byte	1                               ; DW_CHILDREN_yes
	.byte	17                              ; DW_AT_low_pc
	.byte	1                               ; DW_FORM_addr
	.byte	18                              ; DW_AT_high_pc
	.byte	6                               ; DW_FORM_data4
	.byte	49                              ; DW_AT_abstract_origin
	.byte	19                              ; DW_FORM_ref4
	.byte	0                               ; EOM(1)
	.byte	0                               ; EOM(2)
	.byte	4                               ; Abbreviation Code
	.byte	29                              ; DW_TAG_inlined_subroutine
	.byte	1                               ; DW_CHILDREN_yes
	.byte	49                              ; DW_AT_abstract_origin
	.byte	19                              ; DW_FORM_ref4
	.byte	85                              ; DW_AT_ranges
	.byte	23                              ; DW_FORM_sec_offset
	.byte	88                              ; DW_AT_call_file
	.byte	11                              ; DW_FORM_data1
	.byte	89                              ; DW_AT_call_line
	.byte	11                              ; DW_FORM_data1
	.byte	87                              ; DW_AT_call_column
	.byte	11                              ; DW_FORM_data1
	.byte	0                               ; EOM(1)
	.byte	0                               ; EOM(2)
	.byte	5                               ; Abbreviation Code
	.byte	29                              ; DW_TAG_inlined_subroutine
	.byte	0                               ; DW_CHILDREN_no
	.byte	49                              ; DW_AT_abstract_origin
	.byte	19                              ; DW_FORM_ref4
	.byte	85                              ; DW_AT_ranges
	.byte	23                              ; DW_FORM_sec_offset
	.byte	88                              ; DW_AT_call_file
	.byte	11                              ; DW_FORM_data1
	.byte	89                              ; DW_AT_call_line
	.byte	5                               ; DW_FORM_data2
	.byte	87                              ; DW_AT_call_column
	.byte	11                              ; DW_FORM_data1
	.byte	0                               ; EOM(1)
	.byte	0                               ; EOM(2)
	;; [unrolled: 1-line block ×3, first 2 shown]
	.section	.debug_info,"",@progbits
.Lcu_begin0:
	.long	.Ldebug_info_end0-.Ldebug_info_start0 ; Length of Unit
.Ldebug_info_start0:
	.short	4                               ; DWARF version number
	.long	.debug_abbrev                   ; Offset Into Abbrev. Section
	.byte	8                               ; Address Size (in bytes)
	.byte	1                               ; Abbrev [1] 0xb:0x6c DW_TAG_compile_unit
	.long	.Linfo_string0                  ; DW_AT_producer
	.short	2                               ; DW_AT_language
	.long	.Linfo_string1                  ; DW_AT_name
	.long	.Lline_table_start0             ; DW_AT_stmt_list
	.long	.Linfo_string2                  ; DW_AT_comp_dir
	.quad	.Lfunc_begin0                   ; DW_AT_low_pc
	.long	.Lfunc_end0-.Lfunc_begin0       ; DW_AT_high_pc
	.byte	2                               ; Abbrev [2] 0x2a:0x6 DW_TAG_subprogram
	.long	.Linfo_string3                  ; DW_AT_name
	.byte	1                               ; DW_AT_inline
	.byte	3                               ; Abbrev [3] 0x30:0x46 DW_TAG_subprogram
	.quad	.Lfunc_begin0                   ; DW_AT_low_pc
	.long	.Lfunc_end0-.Lfunc_begin0       ; DW_AT_high_pc
	.long	42                              ; DW_AT_abstract_origin
	.byte	4                               ; Abbrev [4] 0x41:0x1a DW_TAG_inlined_subroutine
	.long	42                              ; DW_AT_abstract_origin
	.long	.Ldebug_ranges0                 ; DW_AT_ranges
	.byte	1                               ; DW_AT_call_file
	.byte	45                              ; DW_AT_call_line
	.byte	18                              ; DW_AT_call_column
	.byte	5                               ; Abbrev [5] 0x4d:0xd DW_TAG_inlined_subroutine
	.long	42                              ; DW_AT_abstract_origin
	.long	.Ldebug_ranges1                 ; DW_AT_ranges
	.byte	2                               ; DW_AT_call_file
	.short	293                             ; DW_AT_call_line
	.byte	36                              ; DW_AT_call_column
	.byte	0                               ; End Of Children Mark
	.byte	4                               ; Abbrev [4] 0x5b:0x1a DW_TAG_inlined_subroutine
	.long	42                              ; DW_AT_abstract_origin
	.long	.Ldebug_ranges2                 ; DW_AT_ranges
	.byte	1                               ; DW_AT_call_file
	.byte	48                              ; DW_AT_call_line
	.byte	17                              ; DW_AT_call_column
	.byte	5                               ; Abbrev [5] 0x67:0xd DW_TAG_inlined_subroutine
	.long	42                              ; DW_AT_abstract_origin
	.long	.Ldebug_ranges3                 ; DW_AT_ranges
	.byte	2                               ; DW_AT_call_file
	.short	293                             ; DW_AT_call_line
	.byte	36                              ; DW_AT_call_column
	.byte	0                               ; End Of Children Mark
	.byte	0                               ; End Of Children Mark
	;; [unrolled: 1-line block ×3, first 2 shown]
.Ldebug_info_end0:
	.section	.debug_ranges,"",@progbits
.Ldebug_ranges0:
	.quad	.Ltmp2-.Lfunc_begin0
	.quad	.Ltmp3-.Lfunc_begin0
	;; [unrolled: 1-line block ×8, first 2 shown]
	.quad	0
	.quad	0
.Ldebug_ranges1:
	.quad	.Ltmp2-.Lfunc_begin0
	.quad	.Ltmp3-.Lfunc_begin0
	;; [unrolled: 1-line block ×10, first 2 shown]
	.quad	0
	.quad	0
.Ldebug_ranges2:
	.quad	.Ltmp17-.Lfunc_begin0
	.quad	.Ltmp18-.Lfunc_begin0
	.quad	.Ltmp19-.Lfunc_begin0
	.quad	.Ltmp20-.Lfunc_begin0
	.quad	.Ltmp21-.Lfunc_begin0
	.quad	.Ltmp22-.Lfunc_begin0
	.quad	.Ltmp23-.Lfunc_begin0
	.quad	.Ltmp24-.Lfunc_begin0
	.quad	.Ltmp25-.Lfunc_begin0
	.quad	.Ltmp26-.Lfunc_begin0
	.quad	.Ltmp27-.Lfunc_begin0
	.quad	.Ltmp28-.Lfunc_begin0
	.quad	.Ltmp29-.Lfunc_begin0
	.quad	.Ltmp30-.Lfunc_begin0
	.quad	.Ltmp31-.Lfunc_begin0
	.quad	.Ltmp32-.Lfunc_begin0
	.quad	.Ltmp33-.Lfunc_begin0
	.quad	.Ltmp34-.Lfunc_begin0
	.quad	.Ltmp35-.Lfunc_begin0
	.quad	.Ltmp36-.Lfunc_begin0
	.quad	.Ltmp37-.Lfunc_begin0
	.quad	.Ltmp38-.Lfunc_begin0
	.quad	.Ltmp39-.Lfunc_begin0
	.quad	.Ltmp40-.Lfunc_begin0
	.quad	.Ltmp41-.Lfunc_begin0
	.quad	.Ltmp42-.Lfunc_begin0
	.quad	.Ltmp43-.Lfunc_begin0
	.quad	.Ltmp44-.Lfunc_begin0
	.quad	.Ltmp45-.Lfunc_begin0
	.quad	.Ltmp46-.Lfunc_begin0
	.quad	.Ltmp47-.Lfunc_begin0
	.quad	.Ltmp48-.Lfunc_begin0
	.quad	.Ltmp49-.Lfunc_begin0
	.quad	.Ltmp50-.Lfunc_begin0
	.quad	.Ltmp51-.Lfunc_begin0
	.quad	.Ltmp52-.Lfunc_begin0
	.quad	.Ltmp53-.Lfunc_begin0
	.quad	.Ltmp54-.Lfunc_begin0
	.quad	.Ltmp55-.Lfunc_begin0
	.quad	.Ltmp56-.Lfunc_begin0
	.quad	.Ltmp57-.Lfunc_begin0
	.quad	.Ltmp58-.Lfunc_begin0
	.quad	.Ltmp59-.Lfunc_begin0
	.quad	.Ltmp60-.Lfunc_begin0
	.quad	.Ltmp61-.Lfunc_begin0
	.quad	.Ltmp62-.Lfunc_begin0
	.quad	.Ltmp63-.Lfunc_begin0
	.quad	.Ltmp64-.Lfunc_begin0
	.quad	.Ltmp65-.Lfunc_begin0
	.quad	.Ltmp66-.Lfunc_begin0
	.quad	.Ltmp67-.Lfunc_begin0
	.quad	.Ltmp68-.Lfunc_begin0
	.quad	.Ltmp69-.Lfunc_begin0
	.quad	.Ltmp70-.Lfunc_begin0
	.quad	.Ltmp71-.Lfunc_begin0
	.quad	.Ltmp72-.Lfunc_begin0
	.quad	.Ltmp73-.Lfunc_begin0
	.quad	.Ltmp74-.Lfunc_begin0
	.quad	.Ltmp75-.Lfunc_begin0
	.quad	.Ltmp76-.Lfunc_begin0
	.quad	.Ltmp77-.Lfunc_begin0
	.quad	.Ltmp78-.Lfunc_begin0
	.quad	.Ltmp79-.Lfunc_begin0
	.quad	.Ltmp80-.Lfunc_begin0
	.quad	.Ltmp81-.Lfunc_begin0
	.quad	.Ltmp82-.Lfunc_begin0
	.quad	.Ltmp83-.Lfunc_begin0
	.quad	.Ltmp84-.Lfunc_begin0
	.quad	.Ltmp85-.Lfunc_begin0
	.quad	.Ltmp86-.Lfunc_begin0
	.quad	.Ltmp87-.Lfunc_begin0
	.quad	.Ltmp88-.Lfunc_begin0
	.quad	.Ltmp89-.Lfunc_begin0
	.quad	.Ltmp90-.Lfunc_begin0
	.quad	.Ltmp91-.Lfunc_begin0
	.quad	.Ltmp92-.Lfunc_begin0
	.quad	.Ltmp93-.Lfunc_begin0
	.quad	.Ltmp94-.Lfunc_begin0
	.quad	.Ltmp95-.Lfunc_begin0
	.quad	.Ltmp96-.Lfunc_begin0
	.quad	.Ltmp97-.Lfunc_begin0
	.quad	.Ltmp98-.Lfunc_begin0
	.quad	.Ltmp99-.Lfunc_begin0
	.quad	.Ltmp100-.Lfunc_begin0
	.quad	.Ltmp101-.Lfunc_begin0
	.quad	.Ltmp102-.Lfunc_begin0
	.quad	.Ltmp103-.Lfunc_begin0
	.quad	.Ltmp104-.Lfunc_begin0
	.quad	.Ltmp105-.Lfunc_begin0
	.quad	.Ltmp106-.Lfunc_begin0
	.quad	.Ltmp107-.Lfunc_begin0
	.quad	.Ltmp108-.Lfunc_begin0
	.quad	.Ltmp109-.Lfunc_begin0
	.quad	.Ltmp110-.Lfunc_begin0
	.quad	.Ltmp111-.Lfunc_begin0
	.quad	.Ltmp112-.Lfunc_begin0
	.quad	.Ltmp113-.Lfunc_begin0
	.quad	.Ltmp114-.Lfunc_begin0
	.quad	.Ltmp115-.Lfunc_begin0
	.quad	.Ltmp116-.Lfunc_begin0
	.quad	.Ltmp117-.Lfunc_begin0
	.quad	.Ltmp118-.Lfunc_begin0
	.quad	.Ltmp119-.Lfunc_begin0
	.quad	.Ltmp120-.Lfunc_begin0
	.quad	.Ltmp121-.Lfunc_begin0
	.quad	.Ltmp122-.Lfunc_begin0
	.quad	.Ltmp123-.Lfunc_begin0
	.quad	.Ltmp124-.Lfunc_begin0
	.quad	.Ltmp125-.Lfunc_begin0
	.quad	.Ltmp126-.Lfunc_begin0
	.quad	.Ltmp127-.Lfunc_begin0
	.quad	.Ltmp128-.Lfunc_begin0
	.quad	.Ltmp129-.Lfunc_begin0
	.quad	.Ltmp130-.Lfunc_begin0
	.quad	.Ltmp131-.Lfunc_begin0
	.quad	.Ltmp132-.Lfunc_begin0
	.quad	.Ltmp133-.Lfunc_begin0
	.quad	.Ltmp134-.Lfunc_begin0
	.quad	.Ltmp135-.Lfunc_begin0
	.quad	.Ltmp136-.Lfunc_begin0
	.quad	.Ltmp137-.Lfunc_begin0
	.quad	.Ltmp138-.Lfunc_begin0
	.quad	.Ltmp139-.Lfunc_begin0
	.quad	.Ltmp140-.Lfunc_begin0
	.quad	.Ltmp141-.Lfunc_begin0
	.quad	.Ltmp145-.Lfunc_begin0
	.quad	.Ltmp146-.Lfunc_begin0
	.quad	.Ltmp149-.Lfunc_begin0
	.quad	.Ltmp150-.Lfunc_begin0
	.quad	.Ltmp151-.Lfunc_begin0
	.quad	.Ltmp152-.Lfunc_begin0
	.quad	.Ltmp153-.Lfunc_begin0
	.quad	0
	.quad	0
.Ldebug_ranges3:
	.quad	.Ltmp19-.Lfunc_begin0
	.quad	.Ltmp20-.Lfunc_begin0
	;; [unrolled: 1-line block ×128, first 2 shown]
	.quad	0
	.quad	0
	.section	.debug_str,"MS",@progbits,1
.Linfo_string0:
	.asciz	"triton"                        ; string offset=0
.Linfo_string1:
	.asciz	"groupnorm_aot.py"              ; string offset=7
.Linfo_string2:
	.asciz	"/root/src/amdgpu-assembly/repos/FlagOpen__FlagGems/triton_aot_kernels" ; string offset=24
.Linfo_string3:
	.asciz	"group_norm_kernel"             ; string offset=94
	.section	".note.GNU-stack","",@progbits
	.amdgpu_metadata
---
amdhsa.kernels:
  - .agpr_count:     0
    .args:
      - .address_space:  global
        .offset:         0
        .size:           8
        .value_kind:     global_buffer
      - .address_space:  global
        .offset:         8
        .size:           8
        .value_kind:     global_buffer
      - .address_space:  global
        .offset:         16
        .size:           8
        .value_kind:     global_buffer
      - .address_space:  global
        .offset:         24
        .size:           8
        .value_kind:     global_buffer
      - .address_space:  global
        .offset:         32
        .size:           8
        .value_kind:     global_buffer
      - .address_space:  global
        .offset:         40
        .size:           8
        .value_kind:     global_buffer
      - .offset:         48
        .size:           4
        .value_kind:     by_value
      - .offset:         52
        .size:           4
        .value_kind:     by_value
      - .offset:         56
        .size:           4
        .value_kind:     by_value
      - .offset:         60
        .size:           4
        .value_kind:     by_value
      - .offset:         64
        .size:           4
        .value_kind:     by_value
      - .address_space:  global
        .offset:         72
        .size:           8
        .value_kind:     global_buffer
      - .address_space:  global
        .offset:         80
        .size:           8
        .value_kind:     global_buffer
    .group_segment_fixed_size: 0
    .kernarg_segment_align: 8
    .kernarg_segment_size: 88
    .max_flat_workgroup_size: 256
    .name:           group_norm_kernel
    .private_segment_fixed_size: 0
    .sgpr_count:     100
    .sgpr_spill_count: 232
    .symbol:         group_norm_kernel.kd
    .uniform_work_group_size: 1
    .uses_dynamic_stack: false
    .vgpr_count:     207
    .vgpr_spill_count: 0
    .wavefront_size: 64
amdhsa.target:   amdgcn-amd-amdhsa--gfx90a
amdhsa.version:
  - 1
  - 2
...

	.end_amdgpu_metadata
	.section	.debug_line,"",@progbits
.Lline_table_start0:
